;; amdgpu-corpus repo=zjin-lcf/HeCBench kind=compiled arch=gfx906 opt=O3
	.amdgcn_target "amdgcn-amd-amdhsa--gfx906"
	.amdhsa_code_object_version 6
	.text
	.protected	_Z16integrateSystemKP15HIP_vector_typeIfLj4EES1_11simParams_tfj ; -- Begin function _Z16integrateSystemKP15HIP_vector_typeIfLj4EES1_11simParams_tfj
	.globl	_Z16integrateSystemKP15HIP_vector_typeIfLj4EES1_11simParams_tfj
	.p2align	8
	.type	_Z16integrateSystemKP15HIP_vector_typeIfLj4EES1_11simParams_tfj,@function
_Z16integrateSystemKP15HIP_vector_typeIfLj4EES1_11simParams_tfj: ; @_Z16integrateSystemKP15HIP_vector_typeIfLj4EES1_11simParams_tfj
; %bb.0:
	s_load_dword s0, s[4:5], 0x8c
	s_load_dwordx2 s[8:9], s[4:5], 0x78
	s_waitcnt lgkmcnt(0)
	s_and_b32 s0, s0, 0xffff
	s_mul_i32 s6, s6, s0
	v_add_u32_e32 v0, s6, v0
	v_cmp_gt_u32_e32 vcc, s9, v0
	s_and_saveexec_b64 s[0:1], vcc
	s_cbranch_execz .LBB0_2
; %bb.1:
	s_load_dwordx4 s[12:15], s[4:5], 0x0
	s_load_dwordx4 s[0:3], s[4:5], 0x20
	v_mov_b32_e32 v1, 0
	v_lshlrev_b64 v[4:5], 4, v[0:1]
	s_waitcnt lgkmcnt(0)
	v_mov_b32_e32 v0, s15
	v_add_co_u32_e32 v11, vcc, s14, v4
	v_addc_co_u32_e32 v12, vcc, v0, v5, vcc
	global_load_dwordx4 v[0:3], v[11:12], off
	s_waitcnt vmcnt(0)
	v_mov_b32_e32 v3, s13
	v_add_co_u32_e32 v13, vcc, s12, v4
	v_addc_co_u32_e32 v14, vcc, v3, v5, vcc
	global_load_dwordx4 v[3:6], v[13:14], off
	s_load_dword s6, s[4:5], 0x74
	s_load_dword s7, s[4:5], 0x30
	v_mov_b32_e32 v9, s0
	v_mov_b32_e32 v7, s2
	;; [unrolled: 1-line block ×3, first 2 shown]
	s_waitcnt vmcnt(0)
	v_fma_f32 v6, s8, 0, 0
	s_waitcnt lgkmcnt(0)
	v_add_f32_e64 v15, s7, -1.0
	v_mul_f32_e32 v6, s3, v6
	v_fma_f32 v10, s8, v6, 1.0
	v_fmac_f32_e32 v0, s8, v9
	v_mul_f32_e32 v0, s3, v0
	v_fma_f32 v2, s8, v7, v2
	v_fma_f32 v1, s8, v8, v1
	v_mul_f32_e32 v1, s3, v1
	v_mul_f32_e32 v2, s3, v2
	v_fmac_f32_e32 v3, s8, v0
	v_cmp_lt_f32_e32 vcc, v3, v15
	v_sub_f32_e64 v9, 1.0, s7
	v_fma_f32 v5, s8, v2, v5
	v_fma_f32 v4, s8, v1, v4
	v_cndmask_b32_e32 v3, v3, v15, vcc
	v_mul_f32_e32 v7, s6, v0
	v_cmp_lt_f32_e64 s[0:1], v4, v15
	v_cmp_lt_f32_e64 s[2:3], v5, v15
	v_cndmask_b32_e32 v0, v0, v7, vcc
	v_cmp_gt_f32_e32 vcc, v3, v9
	v_cndmask_b32_e64 v4, v4, v15, s[0:1]
	v_cndmask_b32_e64 v5, v5, v15, s[2:3]
	v_mul_f32_e32 v8, s6, v1
	v_cndmask_b32_e32 v7, v3, v9, vcc
	v_mul_f32_e32 v3, s6, v2
	v_cndmask_b32_e64 v1, v1, v8, s[0:1]
	v_cmp_gt_f32_e64 s[0:1], v4, v9
	v_cndmask_b32_e64 v2, v2, v3, s[2:3]
	v_cmp_gt_f32_e64 s[2:3], v5, v9
	v_cndmask_b32_e64 v8, v4, v9, s[0:1]
	v_cndmask_b32_e64 v9, v5, v9, s[2:3]
	v_mul_f32_e32 v3, s6, v0
	v_mul_f32_e32 v4, s6, v1
	;; [unrolled: 1-line block ×3, first 2 shown]
	v_cndmask_b32_e32 v3, v0, v3, vcc
	v_cndmask_b32_e64 v4, v1, v4, s[0:1]
	v_cndmask_b32_e64 v5, v2, v5, s[2:3]
	global_store_dwordx4 v[13:14], v[7:10], off
	global_store_dwordx4 v[11:12], v[3:6], off
.LBB0_2:
	s_endpgm
	.section	.rodata,"a",@progbits
	.p2align	6, 0x0
	.amdhsa_kernel _Z16integrateSystemKP15HIP_vector_typeIfLj4EES1_11simParams_tfj
		.amdhsa_group_segment_fixed_size 0
		.amdhsa_private_segment_fixed_size 0
		.amdhsa_kernarg_size 384
		.amdhsa_user_sgpr_count 6
		.amdhsa_user_sgpr_private_segment_buffer 1
		.amdhsa_user_sgpr_dispatch_ptr 0
		.amdhsa_user_sgpr_queue_ptr 0
		.amdhsa_user_sgpr_kernarg_segment_ptr 1
		.amdhsa_user_sgpr_dispatch_id 0
		.amdhsa_user_sgpr_flat_scratch_init 0
		.amdhsa_user_sgpr_private_segment_size 0
		.amdhsa_uses_dynamic_stack 0
		.amdhsa_system_sgpr_private_segment_wavefront_offset 0
		.amdhsa_system_sgpr_workgroup_id_x 1
		.amdhsa_system_sgpr_workgroup_id_y 0
		.amdhsa_system_sgpr_workgroup_id_z 0
		.amdhsa_system_sgpr_workgroup_info 0
		.amdhsa_system_vgpr_workitem_id 0
		.amdhsa_next_free_vgpr 16
		.amdhsa_next_free_sgpr 16
		.amdhsa_reserve_vcc 1
		.amdhsa_reserve_flat_scratch 0
		.amdhsa_float_round_mode_32 0
		.amdhsa_float_round_mode_16_64 0
		.amdhsa_float_denorm_mode_32 3
		.amdhsa_float_denorm_mode_16_64 3
		.amdhsa_dx10_clamp 1
		.amdhsa_ieee_mode 1
		.amdhsa_fp16_overflow 0
		.amdhsa_exception_fp_ieee_invalid_op 0
		.amdhsa_exception_fp_denorm_src 0
		.amdhsa_exception_fp_ieee_div_zero 0
		.amdhsa_exception_fp_ieee_overflow 0
		.amdhsa_exception_fp_ieee_underflow 0
		.amdhsa_exception_fp_ieee_inexact 0
		.amdhsa_exception_int_div_zero 0
	.end_amdhsa_kernel
	.text
.Lfunc_end0:
	.size	_Z16integrateSystemKP15HIP_vector_typeIfLj4EES1_11simParams_tfj, .Lfunc_end0-_Z16integrateSystemKP15HIP_vector_typeIfLj4EES1_11simParams_tfj
                                        ; -- End function
	.set _Z16integrateSystemKP15HIP_vector_typeIfLj4EES1_11simParams_tfj.num_vgpr, 16
	.set _Z16integrateSystemKP15HIP_vector_typeIfLj4EES1_11simParams_tfj.num_agpr, 0
	.set _Z16integrateSystemKP15HIP_vector_typeIfLj4EES1_11simParams_tfj.numbered_sgpr, 16
	.set _Z16integrateSystemKP15HIP_vector_typeIfLj4EES1_11simParams_tfj.num_named_barrier, 0
	.set _Z16integrateSystemKP15HIP_vector_typeIfLj4EES1_11simParams_tfj.private_seg_size, 0
	.set _Z16integrateSystemKP15HIP_vector_typeIfLj4EES1_11simParams_tfj.uses_vcc, 1
	.set _Z16integrateSystemKP15HIP_vector_typeIfLj4EES1_11simParams_tfj.uses_flat_scratch, 0
	.set _Z16integrateSystemKP15HIP_vector_typeIfLj4EES1_11simParams_tfj.has_dyn_sized_stack, 0
	.set _Z16integrateSystemKP15HIP_vector_typeIfLj4EES1_11simParams_tfj.has_recursion, 0
	.set _Z16integrateSystemKP15HIP_vector_typeIfLj4EES1_11simParams_tfj.has_indirect_call, 0
	.section	.AMDGPU.csdata,"",@progbits
; Kernel info:
; codeLenInByte = 412
; TotalNumSgprs: 20
; NumVgprs: 16
; ScratchSize: 0
; MemoryBound: 0
; FloatMode: 240
; IeeeMode: 1
; LDSByteSize: 0 bytes/workgroup (compile time only)
; SGPRBlocks: 2
; VGPRBlocks: 3
; NumSGPRsForWavesPerEU: 20
; NumVGPRsForWavesPerEU: 16
; Occupancy: 10
; WaveLimiterHint : 1
; COMPUTE_PGM_RSRC2:SCRATCH_EN: 0
; COMPUTE_PGM_RSRC2:USER_SGPR: 6
; COMPUTE_PGM_RSRC2:TRAP_HANDLER: 0
; COMPUTE_PGM_RSRC2:TGID_X_EN: 1
; COMPUTE_PGM_RSRC2:TGID_Y_EN: 0
; COMPUTE_PGM_RSRC2:TGID_Z_EN: 0
; COMPUTE_PGM_RSRC2:TIDIG_COMP_CNT: 0
	.text
	.protected	_Z9calcHashKPjS_PK15HIP_vector_typeIfLj4EE11simParams_tj ; -- Begin function _Z9calcHashKPjS_PK15HIP_vector_typeIfLj4EE11simParams_tj
	.globl	_Z9calcHashKPjS_PK15HIP_vector_typeIfLj4EE11simParams_tj
	.p2align	8
	.type	_Z9calcHashKPjS_PK15HIP_vector_typeIfLj4EE11simParams_tj,@function
_Z9calcHashKPjS_PK15HIP_vector_typeIfLj4EE11simParams_tj: ; @_Z9calcHashKPjS_PK15HIP_vector_typeIfLj4EE11simParams_tj
; %bb.0:
	s_load_dword s0, s[4:5], 0x94
	s_load_dword s1, s[4:5], 0x80
	s_waitcnt lgkmcnt(0)
	s_and_b32 s0, s0, 0xffff
	s_mul_i32 s6, s6, s0
	v_add_u32_e32 v0, s6, v0
	v_cmp_gt_u32_e32 vcc, s1, v0
	s_and_saveexec_b64 s[0:1], vcc
	s_cbranch_execz .LBB1_2
; %bb.1:
	s_load_dwordx2 s[0:1], s[4:5], 0x10
	v_mov_b32_e32 v1, 0
	v_lshlrev_b64 v[2:3], 4, v[0:1]
	s_waitcnt lgkmcnt(0)
	v_mov_b32_e32 v4, s1
	v_add_co_u32_e32 v2, vcc, s0, v2
	v_addc_co_u32_e32 v3, vcc, v4, v3, vcc
	global_load_dwordx3 v[2:4], v[2:3], off
	s_load_dwordx8 s[8:15], s[4:5], 0x3c
	s_load_dwordx2 s[6:7], s[4:5], 0x5c
	s_waitcnt lgkmcnt(0)
	s_add_i32 s11, s8, -1
	s_waitcnt vmcnt(0)
	v_subrev_f32_e32 v5, s12, v2
	v_subrev_f32_e32 v3, s13, v3
	v_div_scale_f32 v2, s[0:1], s15, s15, v5
	v_subrev_f32_e32 v4, s14, v4
	v_div_scale_f32 v6, s[0:1], s6, s6, v3
	v_div_scale_f32 v7, s[0:1], s7, s7, v4
	v_div_scale_f32 v8, vcc, v5, s15, v5
	v_div_scale_f32 v9, s[0:1], v3, s6, v3
	v_div_scale_f32 v10, s[2:3], v4, s7, v4
	v_rcp_f32_e32 v11, v2
	v_rcp_f32_e32 v12, v6
	v_fma_f32 v14, -v2, v11, 1.0
	v_rcp_f32_e32 v13, v7
	v_fmac_f32_e32 v11, v14, v11
	v_fma_f32 v15, -v6, v12, 1.0
	v_fmac_f32_e32 v12, v15, v12
	v_fma_f32 v16, -v7, v13, 1.0
	v_mul_f32_e32 v14, v8, v11
	v_fmac_f32_e32 v13, v16, v13
	v_mul_f32_e32 v15, v9, v12
	v_fma_f32 v17, -v2, v14, v8
	v_mul_f32_e32 v16, v10, v13
	v_fma_f32 v18, -v6, v15, v9
	v_fmac_f32_e32 v14, v17, v11
	v_fma_f32 v19, -v7, v16, v10
	v_fmac_f32_e32 v15, v18, v12
	;; [unrolled: 2-line block ×3, first 2 shown]
	v_fma_f32 v6, -v6, v15, v9
	v_div_fmas_f32 v8, v2, v11, v14
	s_mov_b64 vcc, s[0:1]
	v_fma_f32 v7, -v7, v16, v10
	v_div_fmas_f32 v6, v6, v12, v15
	s_mov_b64 vcc, s[2:3]
	v_div_fmas_f32 v7, v7, v13, v16
	s_load_dwordx4 s[0:3], s[4:5], 0x0
	s_add_i32 s4, s9, -1
	s_add_i32 s5, s10, -1
	v_lshlrev_b64 v[1:2], 2, v[0:1]
	s_waitcnt lgkmcnt(0)
	v_mov_b32_e32 v9, s1
	v_mov_b32_e32 v10, s3
	v_div_fixup_f32 v5, v8, s15, v5
	v_floor_f32_e32 v5, v5
	v_div_fixup_f32 v3, v6, s6, v3
	v_floor_f32_e32 v3, v3
	;; [unrolled: 2-line block ×3, first 2 shown]
	v_cvt_i32_f32_e32 v3, v3
	v_cvt_i32_f32_e32 v4, v4
	;; [unrolled: 1-line block ×3, first 2 shown]
	v_and_b32_e32 v3, s4, v3
	v_and_b32_e32 v4, s5, v4
	v_mad_u64_u32 v[3:4], s[4:5], v4, s9, v[3:4]
	v_and_b32_e32 v6, s11, v6
	v_add_co_u32_e32 v4, vcc, s0, v1
	v_mad_u64_u32 v[6:7], s[0:1], v3, s8, v[6:7]
	v_addc_co_u32_e32 v5, vcc, v9, v2, vcc
	v_add_co_u32_e32 v1, vcc, s2, v1
	v_addc_co_u32_e32 v2, vcc, v10, v2, vcc
	global_store_dword v[4:5], v6, off
	global_store_dword v[1:2], v0, off
.LBB1_2:
	s_endpgm
	.section	.rodata,"a",@progbits
	.p2align	6, 0x0
	.amdhsa_kernel _Z9calcHashKPjS_PK15HIP_vector_typeIfLj4EE11simParams_tj
		.amdhsa_group_segment_fixed_size 0
		.amdhsa_private_segment_fixed_size 0
		.amdhsa_kernarg_size 392
		.amdhsa_user_sgpr_count 6
		.amdhsa_user_sgpr_private_segment_buffer 1
		.amdhsa_user_sgpr_dispatch_ptr 0
		.amdhsa_user_sgpr_queue_ptr 0
		.amdhsa_user_sgpr_kernarg_segment_ptr 1
		.amdhsa_user_sgpr_dispatch_id 0
		.amdhsa_user_sgpr_flat_scratch_init 0
		.amdhsa_user_sgpr_private_segment_size 0
		.amdhsa_uses_dynamic_stack 0
		.amdhsa_system_sgpr_private_segment_wavefront_offset 0
		.amdhsa_system_sgpr_workgroup_id_x 1
		.amdhsa_system_sgpr_workgroup_id_y 0
		.amdhsa_system_sgpr_workgroup_id_z 0
		.amdhsa_system_sgpr_workgroup_info 0
		.amdhsa_system_vgpr_workitem_id 0
		.amdhsa_next_free_vgpr 20
		.amdhsa_next_free_sgpr 16
		.amdhsa_reserve_vcc 1
		.amdhsa_reserve_flat_scratch 0
		.amdhsa_float_round_mode_32 0
		.amdhsa_float_round_mode_16_64 0
		.amdhsa_float_denorm_mode_32 3
		.amdhsa_float_denorm_mode_16_64 3
		.amdhsa_dx10_clamp 1
		.amdhsa_ieee_mode 1
		.amdhsa_fp16_overflow 0
		.amdhsa_exception_fp_ieee_invalid_op 0
		.amdhsa_exception_fp_denorm_src 0
		.amdhsa_exception_fp_ieee_div_zero 0
		.amdhsa_exception_fp_ieee_overflow 0
		.amdhsa_exception_fp_ieee_underflow 0
		.amdhsa_exception_fp_ieee_inexact 0
		.amdhsa_exception_int_div_zero 0
	.end_amdhsa_kernel
	.text
.Lfunc_end1:
	.size	_Z9calcHashKPjS_PK15HIP_vector_typeIfLj4EE11simParams_tj, .Lfunc_end1-_Z9calcHashKPjS_PK15HIP_vector_typeIfLj4EE11simParams_tj
                                        ; -- End function
	.set _Z9calcHashKPjS_PK15HIP_vector_typeIfLj4EE11simParams_tj.num_vgpr, 20
	.set _Z9calcHashKPjS_PK15HIP_vector_typeIfLj4EE11simParams_tj.num_agpr, 0
	.set _Z9calcHashKPjS_PK15HIP_vector_typeIfLj4EE11simParams_tj.numbered_sgpr, 16
	.set _Z9calcHashKPjS_PK15HIP_vector_typeIfLj4EE11simParams_tj.num_named_barrier, 0
	.set _Z9calcHashKPjS_PK15HIP_vector_typeIfLj4EE11simParams_tj.private_seg_size, 0
	.set _Z9calcHashKPjS_PK15HIP_vector_typeIfLj4EE11simParams_tj.uses_vcc, 1
	.set _Z9calcHashKPjS_PK15HIP_vector_typeIfLj4EE11simParams_tj.uses_flat_scratch, 0
	.set _Z9calcHashKPjS_PK15HIP_vector_typeIfLj4EE11simParams_tj.has_dyn_sized_stack, 0
	.set _Z9calcHashKPjS_PK15HIP_vector_typeIfLj4EE11simParams_tj.has_recursion, 0
	.set _Z9calcHashKPjS_PK15HIP_vector_typeIfLj4EE11simParams_tj.has_indirect_call, 0
	.section	.AMDGPU.csdata,"",@progbits
; Kernel info:
; codeLenInByte = 480
; TotalNumSgprs: 20
; NumVgprs: 20
; ScratchSize: 0
; MemoryBound: 0
; FloatMode: 240
; IeeeMode: 1
; LDSByteSize: 0 bytes/workgroup (compile time only)
; SGPRBlocks: 2
; VGPRBlocks: 4
; NumSGPRsForWavesPerEU: 20
; NumVGPRsForWavesPerEU: 20
; Occupancy: 10
; WaveLimiterHint : 0
; COMPUTE_PGM_RSRC2:SCRATCH_EN: 0
; COMPUTE_PGM_RSRC2:USER_SGPR: 6
; COMPUTE_PGM_RSRC2:TRAP_HANDLER: 0
; COMPUTE_PGM_RSRC2:TGID_X_EN: 1
; COMPUTE_PGM_RSRC2:TGID_Y_EN: 0
; COMPUTE_PGM_RSRC2:TGID_Z_EN: 0
; COMPUTE_PGM_RSRC2:TIDIG_COMP_CNT: 0
	.text
	.protected	_Z7memSetKPjjj          ; -- Begin function _Z7memSetKPjjj
	.globl	_Z7memSetKPjjj
	.p2align	8
	.type	_Z7memSetKPjjj,@function
_Z7memSetKPjjj:                         ; @_Z7memSetKPjjj
; %bb.0:
	s_load_dword s2, s[4:5], 0x1c
	s_load_dwordx2 s[0:1], s[4:5], 0x8
	s_waitcnt lgkmcnt(0)
	s_and_b32 s2, s2, 0xffff
	s_mul_i32 s6, s6, s2
	v_add_u32_e32 v0, s6, v0
	v_cmp_gt_u32_e32 vcc, s1, v0
	s_and_saveexec_b64 s[2:3], vcc
	s_cbranch_execz .LBB2_2
; %bb.1:
	s_load_dwordx2 s[2:3], s[4:5], 0x0
	v_mov_b32_e32 v1, 0
	v_lshlrev_b64 v[0:1], 2, v[0:1]
	s_waitcnt lgkmcnt(0)
	v_mov_b32_e32 v2, s3
	v_add_co_u32_e32 v0, vcc, s2, v0
	v_addc_co_u32_e32 v1, vcc, v2, v1, vcc
	v_mov_b32_e32 v2, s0
	global_store_dword v[0:1], v2, off
.LBB2_2:
	s_endpgm
	.section	.rodata,"a",@progbits
	.p2align	6, 0x0
	.amdhsa_kernel _Z7memSetKPjjj
		.amdhsa_group_segment_fixed_size 0
		.amdhsa_private_segment_fixed_size 0
		.amdhsa_kernarg_size 272
		.amdhsa_user_sgpr_count 6
		.amdhsa_user_sgpr_private_segment_buffer 1
		.amdhsa_user_sgpr_dispatch_ptr 0
		.amdhsa_user_sgpr_queue_ptr 0
		.amdhsa_user_sgpr_kernarg_segment_ptr 1
		.amdhsa_user_sgpr_dispatch_id 0
		.amdhsa_user_sgpr_flat_scratch_init 0
		.amdhsa_user_sgpr_private_segment_size 0
		.amdhsa_uses_dynamic_stack 0
		.amdhsa_system_sgpr_private_segment_wavefront_offset 0
		.amdhsa_system_sgpr_workgroup_id_x 1
		.amdhsa_system_sgpr_workgroup_id_y 0
		.amdhsa_system_sgpr_workgroup_id_z 0
		.amdhsa_system_sgpr_workgroup_info 0
		.amdhsa_system_vgpr_workitem_id 0
		.amdhsa_next_free_vgpr 3
		.amdhsa_next_free_sgpr 7
		.amdhsa_reserve_vcc 1
		.amdhsa_reserve_flat_scratch 0
		.amdhsa_float_round_mode_32 0
		.amdhsa_float_round_mode_16_64 0
		.amdhsa_float_denorm_mode_32 3
		.amdhsa_float_denorm_mode_16_64 3
		.amdhsa_dx10_clamp 1
		.amdhsa_ieee_mode 1
		.amdhsa_fp16_overflow 0
		.amdhsa_exception_fp_ieee_invalid_op 0
		.amdhsa_exception_fp_denorm_src 0
		.amdhsa_exception_fp_ieee_div_zero 0
		.amdhsa_exception_fp_ieee_overflow 0
		.amdhsa_exception_fp_ieee_underflow 0
		.amdhsa_exception_fp_ieee_inexact 0
		.amdhsa_exception_int_div_zero 0
	.end_amdhsa_kernel
	.text
.Lfunc_end2:
	.size	_Z7memSetKPjjj, .Lfunc_end2-_Z7memSetKPjjj
                                        ; -- End function
	.set _Z7memSetKPjjj.num_vgpr, 3
	.set _Z7memSetKPjjj.num_agpr, 0
	.set _Z7memSetKPjjj.numbered_sgpr, 7
	.set _Z7memSetKPjjj.num_named_barrier, 0
	.set _Z7memSetKPjjj.private_seg_size, 0
	.set _Z7memSetKPjjj.uses_vcc, 1
	.set _Z7memSetKPjjj.uses_flat_scratch, 0
	.set _Z7memSetKPjjj.has_dyn_sized_stack, 0
	.set _Z7memSetKPjjj.has_recursion, 0
	.set _Z7memSetKPjjj.has_indirect_call, 0
	.section	.AMDGPU.csdata,"",@progbits
; Kernel info:
; codeLenInByte = 100
; TotalNumSgprs: 11
; NumVgprs: 3
; ScratchSize: 0
; MemoryBound: 0
; FloatMode: 240
; IeeeMode: 1
; LDSByteSize: 0 bytes/workgroup (compile time only)
; SGPRBlocks: 1
; VGPRBlocks: 0
; NumSGPRsForWavesPerEU: 11
; NumVGPRsForWavesPerEU: 3
; Occupancy: 10
; WaveLimiterHint : 0
; COMPUTE_PGM_RSRC2:SCRATCH_EN: 0
; COMPUTE_PGM_RSRC2:USER_SGPR: 6
; COMPUTE_PGM_RSRC2:TRAP_HANDLER: 0
; COMPUTE_PGM_RSRC2:TGID_X_EN: 1
; COMPUTE_PGM_RSRC2:TGID_Y_EN: 0
; COMPUTE_PGM_RSRC2:TGID_Z_EN: 0
; COMPUTE_PGM_RSRC2:TIDIG_COMP_CNT: 0
	.text
	.protected	_Z25findCellBoundsAndReorderKPjS_P15HIP_vector_typeIfLj4EES2_PKjS4_PKS1_S6_j ; -- Begin function _Z25findCellBoundsAndReorderKPjS_P15HIP_vector_typeIfLj4EES2_PKjS4_PKS1_S6_j
	.globl	_Z25findCellBoundsAndReorderKPjS_P15HIP_vector_typeIfLj4EES2_PKjS4_PKS1_S6_j
	.p2align	8
	.type	_Z25findCellBoundsAndReorderKPjS_P15HIP_vector_typeIfLj4EES2_PKjS4_PKS1_S6_j,@function
_Z25findCellBoundsAndReorderKPjS_P15HIP_vector_typeIfLj4EES2_PKjS4_PKS1_S6_j: ; @_Z25findCellBoundsAndReorderKPjS_P15HIP_vector_typeIfLj4EES2_PKjS4_PKS1_S6_j
; %bb.0:
	s_load_dword s0, s[4:5], 0x54
	s_load_dword s18, s[4:5], 0x40
                                        ; implicit-def: $vgpr3
	s_waitcnt lgkmcnt(0)
	s_and_b32 s0, s0, 0xffff
	s_mul_i32 s6, s6, s0
	v_add_u32_e32 v1, s6, v0
	v_cmp_gt_u32_e32 vcc, s18, v1
	s_and_saveexec_b64 s[6:7], vcc
	s_cbranch_execz .LBB3_4
; %bb.1:
	s_load_dwordx2 s[8:9], s[4:5], 0x20
	v_mov_b32_e32 v2, 0
	v_lshlrev_b64 v[3:4], 2, v[1:2]
	v_cmp_eq_u32_e64 s[2:3], 0, v0
	s_waitcnt lgkmcnt(0)
	v_mov_b32_e32 v5, s9
	v_add_co_u32_e64 v3, s[0:1], s8, v3
	v_addc_co_u32_e64 v4, s[0:1], v5, v4, s[0:1]
	global_load_dword v3, v[3:4], off
	v_cmp_ne_u32_e64 s[0:1], 0, v1
	v_lshl_add_u32 v4, v0, 2, 0
	s_and_b64 s[0:1], s[2:3], s[0:1]
	s_waitcnt vmcnt(0)
	ds_write_b32 v4, v3 offset:4
	s_and_saveexec_b64 s[2:3], s[0:1]
	s_cbranch_execz .LBB3_3
; %bb.2:
	v_add_u32_e32 v4, -1, v1
	v_mov_b32_e32 v5, v2
	v_lshlrev_b64 v[4:5], 2, v[4:5]
	v_mov_b32_e32 v6, s9
	v_add_co_u32_e64 v4, s[0:1], s8, v4
	v_addc_co_u32_e64 v5, s[0:1], v6, v5, s[0:1]
	global_load_dword v4, v[4:5], off
	s_waitcnt vmcnt(0)
	ds_write_b32 v2, v4
.LBB3_3:
	s_or_b64 exec, exec, s[2:3]
.LBB3_4:
	s_or_b64 exec, exec, s[6:7]
	s_waitcnt lgkmcnt(0)
	s_barrier
	s_and_saveexec_b64 s[0:1], vcc
	s_cbranch_execz .LBB3_14
; %bb.5:
	s_load_dwordx4 s[8:11], s[4:5], 0x0
	v_cmp_ne_u32_e32 vcc, 0, v1
	s_and_saveexec_b64 s[0:1], vcc
	s_xor_b64 s[0:1], exec, s[0:1]
	s_cbranch_execz .LBB3_9
; %bb.6:
	v_lshl_add_u32 v0, v0, 2, 0
	ds_read_b32 v4, v0
	s_waitcnt lgkmcnt(0)
	v_cmp_ne_u32_e32 vcc, v3, v4
	s_and_saveexec_b64 s[2:3], vcc
	s_cbranch_execz .LBB3_8
; %bb.7:
	v_mov_b32_e32 v5, 0
	v_lshlrev_b64 v[6:7], 2, v[4:5]
	v_mov_b32_e32 v4, v5
	v_mov_b32_e32 v0, s11
	v_add_co_u32_e32 v6, vcc, s10, v6
	v_lshlrev_b64 v[4:5], 2, v[3:4]
	v_addc_co_u32_e32 v7, vcc, v0, v7, vcc
	v_mov_b32_e32 v0, s9
	v_add_co_u32_e32 v4, vcc, s8, v4
	v_addc_co_u32_e32 v5, vcc, v0, v5, vcc
	global_store_dword v[4:5], v1, off
	global_store_dword v[6:7], v1, off
.LBB3_8:
	s_or_b64 exec, exec, s[2:3]
.LBB3_9:
	s_or_saveexec_b64 s[16:17], s[0:1]
	s_load_dwordx4 s[0:3], s[4:5], 0x10
	s_load_dwordx4 s[12:15], s[4:5], 0x28
	s_load_dwordx2 s[6:7], s[4:5], 0x38
	s_xor_b64 exec, exec, s[16:17]
	s_cbranch_execz .LBB3_11
; %bb.10:
	v_mov_b32_e32 v4, 0
	v_lshlrev_b64 v[5:6], 2, v[3:4]
	s_waitcnt lgkmcnt(0)
	v_mov_b32_e32 v0, s9
	v_add_co_u32_e32 v5, vcc, s8, v5
	v_addc_co_u32_e32 v6, vcc, v0, v6, vcc
	global_store_dword v[5:6], v4, off
.LBB3_11:
	s_or_b64 exec, exec, s[16:17]
	s_add_i32 s4, s18, -1
	v_cmp_eq_u32_e32 vcc, s4, v1
	s_and_saveexec_b64 s[4:5], vcc
	s_cbranch_execz .LBB3_13
; %bb.12:
	v_mov_b32_e32 v4, 0
	v_lshlrev_b64 v[2:3], 2, v[3:4]
	s_waitcnt lgkmcnt(0)
	v_mov_b32_e32 v0, s11
	v_add_co_u32_e32 v2, vcc, s10, v2
	v_addc_co_u32_e32 v3, vcc, v0, v3, vcc
	v_mov_b32_e32 v0, s18
	global_store_dword v[2:3], v0, off
.LBB3_13:
	s_or_b64 exec, exec, s[4:5]
	v_mov_b32_e32 v2, 0
	v_lshlrev_b64 v[3:4], 2, v[1:2]
	s_waitcnt lgkmcnt(0)
	v_mov_b32_e32 v0, s13
	v_add_co_u32_e32 v3, vcc, s12, v3
	v_addc_co_u32_e32 v4, vcc, v0, v4, vcc
	global_load_dword v3, v[3:4], off
	v_mov_b32_e32 v4, v2
	v_mov_b32_e32 v0, s15
	;; [unrolled: 1-line block ×3, first 2 shown]
	s_waitcnt vmcnt(0)
	v_lshlrev_b64 v[3:4], 4, v[3:4]
	v_add_co_u32_e32 v11, vcc, s14, v3
	v_addc_co_u32_e32 v12, vcc, v0, v4, vcc
	v_add_co_u32_e32 v13, vcc, s6, v3
	v_addc_co_u32_e32 v14, vcc, v5, v4, vcc
	global_load_dwordx4 v[3:6], v[11:12], off
	global_load_dwordx4 v[7:10], v[13:14], off
	v_lshlrev_b64 v[0:1], 4, v[1:2]
	v_mov_b32_e32 v12, s1
	v_add_co_u32_e32 v11, vcc, s0, v0
	v_addc_co_u32_e32 v12, vcc, v12, v1, vcc
	v_mov_b32_e32 v13, s3
	v_add_co_u32_e32 v0, vcc, s2, v0
	v_addc_co_u32_e32 v1, vcc, v13, v1, vcc
	s_waitcnt vmcnt(1)
	global_store_dwordx4 v[11:12], v[3:6], off
	s_waitcnt vmcnt(1)
	global_store_dwordx4 v[0:1], v[7:10], off
.LBB3_14:
	s_endpgm
	.section	.rodata,"a",@progbits
	.p2align	6, 0x0
	.amdhsa_kernel _Z25findCellBoundsAndReorderKPjS_P15HIP_vector_typeIfLj4EES2_PKjS4_PKS1_S6_j
		.amdhsa_group_segment_fixed_size 0
		.amdhsa_private_segment_fixed_size 0
		.amdhsa_kernarg_size 328
		.amdhsa_user_sgpr_count 6
		.amdhsa_user_sgpr_private_segment_buffer 1
		.amdhsa_user_sgpr_dispatch_ptr 0
		.amdhsa_user_sgpr_queue_ptr 0
		.amdhsa_user_sgpr_kernarg_segment_ptr 1
		.amdhsa_user_sgpr_dispatch_id 0
		.amdhsa_user_sgpr_flat_scratch_init 0
		.amdhsa_user_sgpr_private_segment_size 0
		.amdhsa_uses_dynamic_stack 0
		.amdhsa_system_sgpr_private_segment_wavefront_offset 0
		.amdhsa_system_sgpr_workgroup_id_x 1
		.amdhsa_system_sgpr_workgroup_id_y 0
		.amdhsa_system_sgpr_workgroup_id_z 0
		.amdhsa_system_sgpr_workgroup_info 0
		.amdhsa_system_vgpr_workitem_id 0
		.amdhsa_next_free_vgpr 15
		.amdhsa_next_free_sgpr 19
		.amdhsa_reserve_vcc 1
		.amdhsa_reserve_flat_scratch 0
		.amdhsa_float_round_mode_32 0
		.amdhsa_float_round_mode_16_64 0
		.amdhsa_float_denorm_mode_32 3
		.amdhsa_float_denorm_mode_16_64 3
		.amdhsa_dx10_clamp 1
		.amdhsa_ieee_mode 1
		.amdhsa_fp16_overflow 0
		.amdhsa_exception_fp_ieee_invalid_op 0
		.amdhsa_exception_fp_denorm_src 0
		.amdhsa_exception_fp_ieee_div_zero 0
		.amdhsa_exception_fp_ieee_overflow 0
		.amdhsa_exception_fp_ieee_underflow 0
		.amdhsa_exception_fp_ieee_inexact 0
		.amdhsa_exception_int_div_zero 0
	.end_amdhsa_kernel
	.text
.Lfunc_end3:
	.size	_Z25findCellBoundsAndReorderKPjS_P15HIP_vector_typeIfLj4EES2_PKjS4_PKS1_S6_j, .Lfunc_end3-_Z25findCellBoundsAndReorderKPjS_P15HIP_vector_typeIfLj4EES2_PKjS4_PKS1_S6_j
                                        ; -- End function
	.set _Z25findCellBoundsAndReorderKPjS_P15HIP_vector_typeIfLj4EES2_PKjS4_PKS1_S6_j.num_vgpr, 15
	.set _Z25findCellBoundsAndReorderKPjS_P15HIP_vector_typeIfLj4EES2_PKjS4_PKS1_S6_j.num_agpr, 0
	.set _Z25findCellBoundsAndReorderKPjS_P15HIP_vector_typeIfLj4EES2_PKjS4_PKS1_S6_j.numbered_sgpr, 19
	.set _Z25findCellBoundsAndReorderKPjS_P15HIP_vector_typeIfLj4EES2_PKjS4_PKS1_S6_j.num_named_barrier, 0
	.set _Z25findCellBoundsAndReorderKPjS_P15HIP_vector_typeIfLj4EES2_PKjS4_PKS1_S6_j.private_seg_size, 0
	.set _Z25findCellBoundsAndReorderKPjS_P15HIP_vector_typeIfLj4EES2_PKjS4_PKS1_S6_j.uses_vcc, 1
	.set _Z25findCellBoundsAndReorderKPjS_P15HIP_vector_typeIfLj4EES2_PKjS4_PKS1_S6_j.uses_flat_scratch, 0
	.set _Z25findCellBoundsAndReorderKPjS_P15HIP_vector_typeIfLj4EES2_PKjS4_PKS1_S6_j.has_dyn_sized_stack, 0
	.set _Z25findCellBoundsAndReorderKPjS_P15HIP_vector_typeIfLj4EES2_PKjS4_PKS1_S6_j.has_recursion, 0
	.set _Z25findCellBoundsAndReorderKPjS_P15HIP_vector_typeIfLj4EES2_PKjS4_PKS1_S6_j.has_indirect_call, 0
	.section	.AMDGPU.csdata,"",@progbits
; Kernel info:
; codeLenInByte = 640
; TotalNumSgprs: 23
; NumVgprs: 15
; ScratchSize: 0
; MemoryBound: 1
; FloatMode: 240
; IeeeMode: 1
; LDSByteSize: 0 bytes/workgroup (compile time only)
; SGPRBlocks: 2
; VGPRBlocks: 3
; NumSGPRsForWavesPerEU: 23
; NumVGPRsForWavesPerEU: 15
; Occupancy: 10
; WaveLimiterHint : 1
; COMPUTE_PGM_RSRC2:SCRATCH_EN: 0
; COMPUTE_PGM_RSRC2:USER_SGPR: 6
; COMPUTE_PGM_RSRC2:TRAP_HANDLER: 0
; COMPUTE_PGM_RSRC2:TGID_X_EN: 1
; COMPUTE_PGM_RSRC2:TGID_Y_EN: 0
; COMPUTE_PGM_RSRC2:TGID_Z_EN: 0
; COMPUTE_PGM_RSRC2:TIDIG_COMP_CNT: 0
	.text
	.protected	_Z8collideKP15HIP_vector_typeIfLj4EEPKS0_S3_PKjS5_S5_11simParams_tj ; -- Begin function _Z8collideKP15HIP_vector_typeIfLj4EEPKS0_S3_PKjS5_S5_11simParams_tj
	.globl	_Z8collideKP15HIP_vector_typeIfLj4EEPKS0_S3_PKjS5_S5_11simParams_tj
	.p2align	8
	.type	_Z8collideKP15HIP_vector_typeIfLj4EEPKS0_S3_PKjS5_S5_11simParams_tj,@function
_Z8collideKP15HIP_vector_typeIfLj4EEPKS0_S3_PKjS5_S5_11simParams_tj: ; @_Z8collideKP15HIP_vector_typeIfLj4EEPKS0_S3_PKjS5_S5_11simParams_tj
; %bb.0:
	s_load_dword s0, s[4:5], 0xac
	s_load_dword s1, s[4:5], 0x98
	s_waitcnt lgkmcnt(0)
	s_and_b32 s0, s0, 0xffff
	s_mul_i32 s6, s6, s0
	v_add_u32_e32 v13, s6, v0
	v_cmp_gt_u32_e32 vcc, s1, v13
	s_and_saveexec_b64 s[0:1], vcc
	s_cbranch_execz .LBB4_96
; %bb.1:
	s_load_dwordx8 s[8:15], s[4:5], 0x0
	v_mov_b32_e32 v5, 0
	v_mov_b32_e32 v14, v5
	v_lshlrev_b64 v[0:1], 4, v[13:14]
	s_load_dwordx4 s[24:27], s[4:5], 0x88
	s_waitcnt lgkmcnt(0)
	v_mov_b32_e32 v3, s11
	v_add_co_u32_e32 v2, vcc, s10, v0
	v_addc_co_u32_e32 v3, vcc, v3, v1, vcc
	global_load_dwordx3 v[10:12], v[2:3], off
	v_mov_b32_e32 v2, s13
	v_add_co_u32_e32 v0, vcc, s12, v0
	v_addc_co_u32_e32 v1, vcc, v2, v1, vcc
	global_load_dwordx4 v[0:3], v[0:1], off
	s_load_dwordx4 s[36:39], s[4:5], 0x64
	s_load_dwordx2 s[6:7], s[4:5], 0x74
	s_load_dwordx4 s[28:31], s[4:5], 0x50
	s_load_dword s46, s[4:5], 0x5c
	s_load_dwordx8 s[16:23], s[4:5], 0x20
	s_load_dword s27, s[4:5], 0x84
	s_waitcnt lgkmcnt(0)
	s_mov_b32 s31, -1
	s_add_i32 s44, s29, -1
	s_add_i32 s45, s30, -1
	s_mov_b32 s33, 0xf800000
	s_add_i32 s46, s46, -1
                                        ; kill: killed $sgpr4_sgpr5
	s_waitcnt vmcnt(1)
	v_subrev_f32_e32 v8, s36, v10
	v_div_scale_f32 v4, s[0:1], s39, s39, v8
	v_subrev_f32_e32 v9, s37, v11
	v_subrev_f32_e32 v15, s38, v12
	v_div_scale_f32 v6, s[0:1], s6, s6, v9
	v_div_scale_f32 v7, s[0:1], s7, s7, v15
	v_div_scale_f32 v16, vcc, v8, s39, v8
	v_div_scale_f32 v17, s[0:1], v9, s6, v9
	v_div_scale_f32 v18, s[2:3], v15, s7, v15
	v_rcp_f32_e32 v19, v4
	v_rcp_f32_e32 v20, v6
	v_fma_f32 v22, -v4, v19, 1.0
	v_rcp_f32_e32 v21, v7
	v_fmac_f32_e32 v19, v22, v19
	v_fma_f32 v23, -v6, v20, 1.0
	v_mul_f32_e32 v22, v16, v19
	v_fma_f32 v24, -v7, v21, 1.0
	v_fmac_f32_e32 v20, v23, v20
	v_fma_f32 v25, -v4, v22, v16
	v_fmac_f32_e32 v21, v24, v21
	v_mul_f32_e32 v23, v17, v20
	v_fmac_f32_e32 v22, v25, v19
	v_mul_f32_e32 v24, v18, v21
	v_fma_f32 v26, -v6, v23, v17
	v_fma_f32 v4, -v4, v22, v16
	;; [unrolled: 1-line block ×3, first 2 shown]
	v_fmac_f32_e32 v23, v26, v20
	v_div_fmas_f32 v16, v4, v19, v22
	v_fmac_f32_e32 v24, v27, v21
	v_fma_f32 v6, -v6, v23, v17
	s_mov_b64 vcc, s[0:1]
	v_div_fmas_f32 v17, v6, v20, v23
	v_fma_f32 v4, -v7, v24, v18
	s_mov_b64 vcc, s[2:3]
	v_div_fmas_f32 v18, v4, v21, v24
	v_mov_b32_e32 v6, v5
	v_mov_b32_e32 v7, v5
	;; [unrolled: 1-line block ×4, first 2 shown]
	v_add_f32_e64 v23, s28, s28
	v_div_fixup_f32 v8, v16, s39, v8
	v_floor_f32_e32 v8, v8
	v_cvt_i32_f32_e32 v24, v8
	v_div_fixup_f32 v9, v17, s6, v9
	v_floor_f32_e32 v8, v9
	v_cvt_i32_f32_e32 v25, v8
	;; [unrolled: 3-line block ×3, first 2 shown]
	v_add_u32_e32 v8, -1, v24
	v_and_b32_e32 v15, s44, v8
	v_mov_b32_e32 v9, v7
	v_and_b32_e32 v16, s45, v25
	v_mov_b32_e32 v8, v6
	v_mov_b32_e32 v7, v5
	;; [unrolled: 1-line block ×3, first 2 shown]
	s_branch .LBB4_5
.LBB4_2:                                ;   in Loop: Header=BB4_5 Depth=1
	s_or_b64 exec, exec, s[34:35]
.LBB4_3:                                ;   in Loop: Header=BB4_5 Depth=1
	s_or_b64 exec, exec, s[6:7]
.LBB4_4:                                ;   in Loop: Header=BB4_5 Depth=1
	s_or_b64 exec, exec, s[4:5]
	s_add_i32 s31, s31, 1
	s_cmp_eq_u32 s31, 2
	s_cbranch_scc1 .LBB4_93
.LBB4_5:                                ; =>This Loop Header: Depth=1
                                        ;     Child Loop BB4_10 Depth 2
                                        ;     Child Loop BB4_20 Depth 2
	;; [unrolled: 1-line block ×9, first 2 shown]
	v_add_u32_e32 v4, s31, v26
	v_add_u32_e32 v17, -1, v25
	v_and_b32_e32 v18, s45, v17
	v_and_b32_e32 v27, s46, v4
	v_mad_u64_u32 v[19:20], s[0:1], v27, s30, v[18:19]
	v_mov_b32_e32 v4, s17
	v_mad_u64_u32 v[19:20], s[0:1], v19, s29, v[15:16]
	v_mov_b32_e32 v20, v5
	v_lshlrev_b64 v[19:20], 2, v[19:20]
	v_add_co_u32_e32 v28, vcc, s16, v19
	v_addc_co_u32_e32 v29, vcc, v4, v20, vcc
	global_load_dword v4, v[28:29], off
	s_waitcnt vmcnt(0)
	v_cmp_ne_u32_e32 vcc, -1, v4
	s_and_saveexec_b64 s[4:5], vcc
	s_cbranch_execz .LBB4_15
; %bb.6:                                ;   in Loop: Header=BB4_5 Depth=1
	v_mov_b32_e32 v17, s19
	v_add_co_u32_e32 v19, vcc, s18, v19
	v_addc_co_u32_e32 v20, vcc, v17, v20, vcc
	global_load_dword v17, v[19:20], off
	s_waitcnt vmcnt(0)
	v_cmp_lt_u32_e32 vcc, v4, v17
	s_and_saveexec_b64 s[6:7], vcc
	s_cbranch_execz .LBB4_14
; %bb.7:                                ;   in Loop: Header=BB4_5 Depth=1
	v_lshlrev_b64 v[19:20], 4, v[4:5]
	s_mov_b64 s[34:35], 0
	s_mov_b64 s[36:37], s[12:13]
	s_mov_b64 s[38:39], s[10:11]
	s_branch .LBB4_10
.LBB4_8:                                ;   in Loop: Header=BB4_10 Depth=2
	s_or_b64 exec, exec, s[42:43]
	v_add_f32_e32 v9, 0, v9
	v_add_f32_e32 v8, v8, v31
	;; [unrolled: 1-line block ×4, first 2 shown]
.LBB4_9:                                ;   in Loop: Header=BB4_10 Depth=2
	s_or_b64 exec, exec, s[40:41]
	s_add_u32 s38, s38, 16
	s_addc_u32 s39, s39, 0
	v_add_u32_e32 v4, 1, v4
	s_add_u32 s36, s36, 16
	s_addc_u32 s37, s37, 0
	v_cmp_ge_u32_e32 vcc, v4, v17
	s_or_b64 s[34:35], vcc, s[34:35]
	s_andn2_b64 exec, exec, s[34:35]
	s_cbranch_execz .LBB4_13
.LBB4_10:                               ;   Parent Loop BB4_5 Depth=1
                                        ; =>  This Inner Loop Header: Depth=2
	v_cmp_ne_u32_e32 vcc, v13, v4
	s_and_saveexec_b64 s[40:41], vcc
	s_cbranch_execz .LBB4_9
; %bb.11:                               ;   in Loop: Header=BB4_10 Depth=2
	v_mov_b32_e32 v21, s39
	v_add_co_u32_e32 v28, vcc, s38, v19
	v_addc_co_u32_e32 v29, vcc, v21, v20, vcc
	global_load_dwordx3 v[28:30], v[28:29], off
	v_mov_b32_e32 v32, 0
	s_waitcnt vmcnt(0)
	v_sub_f32_e32 v29, v29, v11
	v_sub_f32_e32 v28, v28, v10
	;; [unrolled: 1-line block ×3, first 2 shown]
	v_mul_f32_e32 v30, v29, v29
	v_fmac_f32_e32 v30, v28, v28
	v_fmac_f32_e32 v30, v21, v21
	v_mul_f32_e32 v31, 0x4f800000, v30
	v_cmp_gt_f32_e32 vcc, s33, v30
	v_cndmask_b32_e32 v30, v30, v31, vcc
	v_sqrt_f32_e32 v33, v30
	v_mov_b32_e32 v31, 0
	v_add_u32_e32 v34, -1, v33
	v_add_u32_e32 v35, 1, v33
	v_fma_f32 v36, -v34, v33, v30
	v_fma_f32 v37, -v35, v33, v30
	v_cmp_ge_f32_e64 s[0:1], 0, v36
	v_cndmask_b32_e64 v33, v33, v34, s[0:1]
	v_cmp_lt_f32_e64 s[0:1], 0, v37
	v_cndmask_b32_e64 v33, v33, v35, s[0:1]
	v_mul_f32_e32 v34, 0x37800000, v33
	v_cndmask_b32_e32 v33, v33, v34, vcc
	v_cmp_class_f32_e32 vcc, v30, v22
	v_cndmask_b32_e32 v30, v33, v30, vcc
	v_cmp_lt_f32_e32 vcc, v30, v23
	v_mov_b32_e32 v33, 0
	s_and_saveexec_b64 s[42:43], vcc
	s_cbranch_execz .LBB4_8
; %bb.12:                               ;   in Loop: Header=BB4_10 Depth=2
	v_mov_b32_e32 v32, s37
	v_add_co_u32_e32 v31, vcc, s36, v19
	v_addc_co_u32_e32 v32, vcc, v32, v20, vcc
	global_load_dwordx3 v[31:33], v[31:32], off
	v_div_scale_f32 v34, s[0:1], v30, v30, v28
	v_div_scale_f32 v35, s[0:1], v30, v30, v29
	;; [unrolled: 1-line block ×3, first 2 shown]
	v_div_scale_f32 v37, vcc, v28, v30, v28
	v_div_scale_f32 v38, s[0:1], v29, v30, v29
	v_div_scale_f32 v39, s[2:3], v21, v30, v21
	v_rcp_f32_e32 v40, v34
	v_rcp_f32_e32 v41, v35
	v_rcp_f32_e32 v42, v36
	v_fma_f32 v43, -v34, v40, 1.0
	v_fma_f32 v44, -v35, v41, 1.0
	v_fmac_f32_e32 v40, v43, v40
	v_fma_f32 v45, -v36, v42, 1.0
	v_fmac_f32_e32 v41, v44, v41
	v_mul_f32_e32 v43, v37, v40
	v_fmac_f32_e32 v42, v45, v42
	v_mul_f32_e32 v44, v38, v41
	v_fma_f32 v46, -v34, v43, v37
	v_mul_f32_e32 v45, v39, v42
	v_fma_f32 v47, -v35, v44, v38
	v_fmac_f32_e32 v43, v46, v40
	v_fma_f32 v48, -v36, v45, v39
	v_fmac_f32_e32 v44, v47, v41
	v_fma_f32 v34, -v34, v43, v37
	v_fmac_f32_e32 v45, v48, v42
	v_fma_f32 v35, -v35, v44, v38
	v_div_fmas_f32 v34, v34, v40, v43
	s_mov_b64 vcc, s[0:1]
	v_fma_f32 v36, -v36, v45, v39
	v_div_fmas_f32 v35, v35, v41, v44
	s_mov_b64 vcc, s[2:3]
	v_div_fmas_f32 v36, v36, v42, v45
	v_sub_f32_e32 v37, v23, v30
	v_mul_f32_e64 v37, v37, -s27
	v_div_fixup_f32 v34, v34, v30, v28
	v_div_fixup_f32 v35, v35, v30, v29
	;; [unrolled: 1-line block ×3, first 2 shown]
	s_waitcnt vmcnt(0)
	v_sub_f32_e32 v36, v31, v0
	v_sub_f32_e32 v38, v32, v1
	v_mul_f32_e32 v40, v34, v36
	v_sub_f32_e32 v39, v33, v2
	v_fmac_f32_e32 v40, v35, v38
	v_mul_f32_e32 v33, s24, v36
	v_mul_f32_e32 v32, s24, v38
	v_mul_f32_e32 v31, s24, v39
	v_fmac_f32_e32 v40, v30, v39
	v_fmac_f32_e32 v33, v34, v37
	;; [unrolled: 1-line block ×4, first 2 shown]
	v_fma_f32 v34, -v34, v40, v36
	v_fma_f32 v35, -v35, v40, v38
	;; [unrolled: 1-line block ×3, first 2 shown]
	v_fmac_f32_e32 v33, s25, v34
	v_fmac_f32_e32 v32, s25, v35
	;; [unrolled: 1-line block ×6, first 2 shown]
	s_branch .LBB4_8
.LBB4_13:                               ;   in Loop: Header=BB4_5 Depth=1
	s_or_b64 exec, exec, s[34:35]
.LBB4_14:                               ;   in Loop: Header=BB4_5 Depth=1
	s_or_b64 exec, exec, s[6:7]
.LBB4_15:                               ;   in Loop: Header=BB4_5 Depth=1
	s_or_b64 exec, exec, s[4:5]
	v_mad_u64_u32 v[19:20], s[0:1], v27, s30, v[18:19]
	v_and_b32_e32 v17, s44, v24
	v_mov_b32_e32 v4, s17
	v_mad_u64_u32 v[19:20], s[0:1], v19, s29, v[17:18]
	v_mov_b32_e32 v20, v5
	v_lshlrev_b64 v[19:20], 2, v[19:20]
	v_add_co_u32_e32 v28, vcc, s16, v19
	v_addc_co_u32_e32 v29, vcc, v4, v20, vcc
	global_load_dword v4, v[28:29], off
	s_waitcnt vmcnt(0)
	v_cmp_ne_u32_e32 vcc, -1, v4
	s_and_saveexec_b64 s[4:5], vcc
	s_cbranch_execz .LBB4_25
; %bb.16:                               ;   in Loop: Header=BB4_5 Depth=1
	v_mov_b32_e32 v21, s19
	v_add_co_u32_e32 v19, vcc, s18, v19
	v_addc_co_u32_e32 v20, vcc, v21, v20, vcc
	global_load_dword v21, v[19:20], off
	s_waitcnt vmcnt(0)
	v_cmp_lt_u32_e32 vcc, v4, v21
	s_and_saveexec_b64 s[6:7], vcc
	s_cbranch_execz .LBB4_24
; %bb.17:                               ;   in Loop: Header=BB4_5 Depth=1
	v_lshlrev_b64 v[19:20], 4, v[4:5]
	s_mov_b64 s[34:35], 0
	s_mov_b64 s[36:37], s[10:11]
	;; [unrolled: 1-line block ×3, first 2 shown]
	s_branch .LBB4_20
.LBB4_18:                               ;   in Loop: Header=BB4_20 Depth=2
	s_or_b64 exec, exec, s[42:43]
	v_add_f32_e32 v9, 0, v9
	v_add_f32_e32 v8, v8, v32
	;; [unrolled: 1-line block ×4, first 2 shown]
.LBB4_19:                               ;   in Loop: Header=BB4_20 Depth=2
	s_or_b64 exec, exec, s[40:41]
	s_add_u32 s38, s38, 16
	s_addc_u32 s39, s39, 0
	v_add_u32_e32 v4, 1, v4
	s_add_u32 s36, s36, 16
	s_addc_u32 s37, s37, 0
	v_cmp_ge_u32_e32 vcc, v4, v21
	s_or_b64 s[34:35], vcc, s[34:35]
	s_andn2_b64 exec, exec, s[34:35]
	s_cbranch_execz .LBB4_23
.LBB4_20:                               ;   Parent Loop BB4_5 Depth=1
                                        ; =>  This Inner Loop Header: Depth=2
	v_cmp_ne_u32_e32 vcc, v13, v4
	s_and_saveexec_b64 s[40:41], vcc
	s_cbranch_execz .LBB4_19
; %bb.21:                               ;   in Loop: Header=BB4_20 Depth=2
	v_mov_b32_e32 v29, s37
	v_add_co_u32_e32 v28, vcc, s36, v19
	v_addc_co_u32_e32 v29, vcc, v29, v20, vcc
	global_load_dwordx3 v[29:31], v[28:29], off
	v_mov_b32_e32 v33, 0
	s_waitcnt vmcnt(0)
	v_sub_f32_e32 v30, v30, v11
	v_sub_f32_e32 v29, v29, v10
	;; [unrolled: 1-line block ×3, first 2 shown]
	v_mul_f32_e32 v31, v30, v30
	v_fmac_f32_e32 v31, v29, v29
	v_fmac_f32_e32 v31, v28, v28
	v_mul_f32_e32 v32, 0x4f800000, v31
	v_cmp_gt_f32_e32 vcc, s33, v31
	v_cndmask_b32_e32 v31, v31, v32, vcc
	v_sqrt_f32_e32 v34, v31
	v_mov_b32_e32 v32, 0
	v_add_u32_e32 v35, -1, v34
	v_add_u32_e32 v36, 1, v34
	v_fma_f32 v37, -v35, v34, v31
	v_fma_f32 v38, -v36, v34, v31
	v_cmp_ge_f32_e64 s[0:1], 0, v37
	v_cndmask_b32_e64 v34, v34, v35, s[0:1]
	v_cmp_lt_f32_e64 s[0:1], 0, v38
	v_cndmask_b32_e64 v34, v34, v36, s[0:1]
	v_mul_f32_e32 v35, 0x37800000, v34
	v_cndmask_b32_e32 v34, v34, v35, vcc
	v_cmp_class_f32_e32 vcc, v31, v22
	v_cndmask_b32_e32 v31, v34, v31, vcc
	v_cmp_lt_f32_e32 vcc, v31, v23
	v_mov_b32_e32 v34, 0
	s_and_saveexec_b64 s[42:43], vcc
	s_cbranch_execz .LBB4_18
; %bb.22:                               ;   in Loop: Header=BB4_20 Depth=2
	v_mov_b32_e32 v33, s39
	v_add_co_u32_e32 v32, vcc, s38, v19
	v_addc_co_u32_e32 v33, vcc, v33, v20, vcc
	global_load_dwordx3 v[32:34], v[32:33], off
	v_div_scale_f32 v35, s[0:1], v31, v31, v29
	v_div_scale_f32 v36, s[0:1], v31, v31, v30
	;; [unrolled: 1-line block ×3, first 2 shown]
	v_div_scale_f32 v38, vcc, v29, v31, v29
	v_div_scale_f32 v39, s[0:1], v30, v31, v30
	v_div_scale_f32 v40, s[2:3], v28, v31, v28
	v_rcp_f32_e32 v41, v35
	v_rcp_f32_e32 v42, v36
	;; [unrolled: 1-line block ×3, first 2 shown]
	v_fma_f32 v44, -v35, v41, 1.0
	v_fma_f32 v45, -v36, v42, 1.0
	v_fmac_f32_e32 v41, v44, v41
	v_fma_f32 v46, -v37, v43, 1.0
	v_fmac_f32_e32 v42, v45, v42
	v_mul_f32_e32 v44, v38, v41
	v_fmac_f32_e32 v43, v46, v43
	v_mul_f32_e32 v45, v39, v42
	v_fma_f32 v47, -v35, v44, v38
	v_mul_f32_e32 v46, v40, v43
	v_fma_f32 v48, -v36, v45, v39
	v_fmac_f32_e32 v44, v47, v41
	v_fma_f32 v49, -v37, v46, v40
	v_fmac_f32_e32 v45, v48, v42
	;; [unrolled: 2-line block ×3, first 2 shown]
	v_fma_f32 v36, -v36, v45, v39
	v_div_fmas_f32 v35, v35, v41, v44
	s_mov_b64 vcc, s[0:1]
	v_fma_f32 v37, -v37, v46, v40
	v_div_fmas_f32 v36, v36, v42, v45
	s_mov_b64 vcc, s[2:3]
	v_div_fmas_f32 v37, v37, v43, v46
	v_sub_f32_e32 v38, v23, v31
	v_mul_f32_e64 v38, v38, -s27
	v_div_fixup_f32 v35, v35, v31, v29
	v_div_fixup_f32 v36, v36, v31, v30
	v_div_fixup_f32 v31, v37, v31, v28
	s_waitcnt vmcnt(0)
	v_sub_f32_e32 v37, v32, v0
	v_sub_f32_e32 v39, v33, v1
	v_mul_f32_e32 v41, v35, v37
	v_sub_f32_e32 v40, v34, v2
	v_fmac_f32_e32 v41, v36, v39
	v_mul_f32_e32 v34, s24, v37
	v_mul_f32_e32 v33, s24, v39
	;; [unrolled: 1-line block ×3, first 2 shown]
	v_fmac_f32_e32 v41, v31, v40
	v_fmac_f32_e32 v34, v35, v38
	;; [unrolled: 1-line block ×4, first 2 shown]
	v_fma_f32 v35, -v35, v41, v37
	v_fma_f32 v36, -v36, v41, v39
	;; [unrolled: 1-line block ×3, first 2 shown]
	v_fmac_f32_e32 v34, s25, v35
	v_fmac_f32_e32 v33, s25, v36
	;; [unrolled: 1-line block ×6, first 2 shown]
	s_branch .LBB4_18
.LBB4_23:                               ;   in Loop: Header=BB4_5 Depth=1
	s_or_b64 exec, exec, s[34:35]
.LBB4_24:                               ;   in Loop: Header=BB4_5 Depth=1
	s_or_b64 exec, exec, s[6:7]
.LBB4_25:                               ;   in Loop: Header=BB4_5 Depth=1
	s_or_b64 exec, exec, s[4:5]
	v_mad_u64_u32 v[19:20], s[0:1], v27, s30, v[18:19]
	v_add_u32_e32 v4, 1, v24
	v_and_b32_e32 v18, s44, v4
	v_mad_u64_u32 v[19:20], s[0:1], v19, s29, v[18:19]
	v_mov_b32_e32 v20, v5
	v_mov_b32_e32 v4, s17
	v_lshlrev_b64 v[19:20], 2, v[19:20]
	v_add_co_u32_e32 v28, vcc, s16, v19
	v_addc_co_u32_e32 v29, vcc, v4, v20, vcc
	global_load_dword v4, v[28:29], off
	s_waitcnt vmcnt(0)
	v_cmp_ne_u32_e32 vcc, -1, v4
	s_and_saveexec_b64 s[4:5], vcc
	s_cbranch_execz .LBB4_35
; %bb.26:                               ;   in Loop: Header=BB4_5 Depth=1
	v_mov_b32_e32 v21, s19
	v_add_co_u32_e32 v19, vcc, s18, v19
	v_addc_co_u32_e32 v20, vcc, v21, v20, vcc
	global_load_dword v21, v[19:20], off
	s_waitcnt vmcnt(0)
	v_cmp_lt_u32_e32 vcc, v4, v21
	s_and_saveexec_b64 s[6:7], vcc
	s_cbranch_execz .LBB4_34
; %bb.27:                               ;   in Loop: Header=BB4_5 Depth=1
	v_lshlrev_b64 v[19:20], 4, v[4:5]
	s_mov_b64 s[34:35], 0
	s_mov_b64 s[36:37], s[10:11]
	s_mov_b64 s[38:39], s[12:13]
	s_branch .LBB4_30
.LBB4_28:                               ;   in Loop: Header=BB4_30 Depth=2
	s_or_b64 exec, exec, s[42:43]
	v_add_f32_e32 v9, 0, v9
	v_add_f32_e32 v8, v8, v32
	;; [unrolled: 1-line block ×4, first 2 shown]
.LBB4_29:                               ;   in Loop: Header=BB4_30 Depth=2
	s_or_b64 exec, exec, s[40:41]
	s_add_u32 s38, s38, 16
	s_addc_u32 s39, s39, 0
	v_add_u32_e32 v4, 1, v4
	s_add_u32 s36, s36, 16
	s_addc_u32 s37, s37, 0
	v_cmp_ge_u32_e32 vcc, v4, v21
	s_or_b64 s[34:35], vcc, s[34:35]
	s_andn2_b64 exec, exec, s[34:35]
	s_cbranch_execz .LBB4_33
.LBB4_30:                               ;   Parent Loop BB4_5 Depth=1
                                        ; =>  This Inner Loop Header: Depth=2
	v_cmp_ne_u32_e32 vcc, v13, v4
	s_and_saveexec_b64 s[40:41], vcc
	s_cbranch_execz .LBB4_29
; %bb.31:                               ;   in Loop: Header=BB4_30 Depth=2
	v_mov_b32_e32 v29, s37
	v_add_co_u32_e32 v28, vcc, s36, v19
	v_addc_co_u32_e32 v29, vcc, v29, v20, vcc
	global_load_dwordx3 v[29:31], v[28:29], off
	v_mov_b32_e32 v33, 0
	s_waitcnt vmcnt(0)
	v_sub_f32_e32 v30, v30, v11
	v_sub_f32_e32 v29, v29, v10
	;; [unrolled: 1-line block ×3, first 2 shown]
	v_mul_f32_e32 v31, v30, v30
	v_fmac_f32_e32 v31, v29, v29
	v_fmac_f32_e32 v31, v28, v28
	v_mul_f32_e32 v32, 0x4f800000, v31
	v_cmp_gt_f32_e32 vcc, s33, v31
	v_cndmask_b32_e32 v31, v31, v32, vcc
	v_sqrt_f32_e32 v34, v31
	v_mov_b32_e32 v32, 0
	v_add_u32_e32 v35, -1, v34
	v_add_u32_e32 v36, 1, v34
	v_fma_f32 v37, -v35, v34, v31
	v_fma_f32 v38, -v36, v34, v31
	v_cmp_ge_f32_e64 s[0:1], 0, v37
	v_cndmask_b32_e64 v34, v34, v35, s[0:1]
	v_cmp_lt_f32_e64 s[0:1], 0, v38
	v_cndmask_b32_e64 v34, v34, v36, s[0:1]
	v_mul_f32_e32 v35, 0x37800000, v34
	v_cndmask_b32_e32 v34, v34, v35, vcc
	v_cmp_class_f32_e32 vcc, v31, v22
	v_cndmask_b32_e32 v31, v34, v31, vcc
	v_cmp_lt_f32_e32 vcc, v31, v23
	v_mov_b32_e32 v34, 0
	s_and_saveexec_b64 s[42:43], vcc
	s_cbranch_execz .LBB4_28
; %bb.32:                               ;   in Loop: Header=BB4_30 Depth=2
	v_mov_b32_e32 v33, s39
	v_add_co_u32_e32 v32, vcc, s38, v19
	v_addc_co_u32_e32 v33, vcc, v33, v20, vcc
	global_load_dwordx3 v[32:34], v[32:33], off
	v_div_scale_f32 v35, s[0:1], v31, v31, v29
	v_div_scale_f32 v36, s[0:1], v31, v31, v30
	;; [unrolled: 1-line block ×3, first 2 shown]
	v_div_scale_f32 v38, vcc, v29, v31, v29
	v_div_scale_f32 v39, s[0:1], v30, v31, v30
	v_div_scale_f32 v40, s[2:3], v28, v31, v28
	v_rcp_f32_e32 v41, v35
	v_rcp_f32_e32 v42, v36
	v_rcp_f32_e32 v43, v37
	v_fma_f32 v44, -v35, v41, 1.0
	v_fma_f32 v45, -v36, v42, 1.0
	v_fmac_f32_e32 v41, v44, v41
	v_fma_f32 v46, -v37, v43, 1.0
	v_fmac_f32_e32 v42, v45, v42
	v_mul_f32_e32 v44, v38, v41
	v_fmac_f32_e32 v43, v46, v43
	v_mul_f32_e32 v45, v39, v42
	v_fma_f32 v47, -v35, v44, v38
	v_mul_f32_e32 v46, v40, v43
	v_fma_f32 v48, -v36, v45, v39
	v_fmac_f32_e32 v44, v47, v41
	v_fma_f32 v49, -v37, v46, v40
	v_fmac_f32_e32 v45, v48, v42
	;; [unrolled: 2-line block ×3, first 2 shown]
	v_fma_f32 v36, -v36, v45, v39
	v_div_fmas_f32 v35, v35, v41, v44
	s_mov_b64 vcc, s[0:1]
	v_fma_f32 v37, -v37, v46, v40
	v_div_fmas_f32 v36, v36, v42, v45
	s_mov_b64 vcc, s[2:3]
	v_div_fmas_f32 v37, v37, v43, v46
	v_sub_f32_e32 v38, v23, v31
	v_mul_f32_e64 v38, v38, -s27
	v_div_fixup_f32 v35, v35, v31, v29
	v_div_fixup_f32 v36, v36, v31, v30
	;; [unrolled: 1-line block ×3, first 2 shown]
	s_waitcnt vmcnt(0)
	v_sub_f32_e32 v37, v32, v0
	v_sub_f32_e32 v39, v33, v1
	v_mul_f32_e32 v41, v35, v37
	v_sub_f32_e32 v40, v34, v2
	v_fmac_f32_e32 v41, v36, v39
	v_mul_f32_e32 v34, s24, v37
	v_mul_f32_e32 v33, s24, v39
	v_mul_f32_e32 v32, s24, v40
	v_fmac_f32_e32 v41, v31, v40
	v_fmac_f32_e32 v34, v35, v38
	v_fmac_f32_e32 v33, v36, v38
	v_fmac_f32_e32 v32, v31, v38
	v_fma_f32 v35, -v35, v41, v37
	v_fma_f32 v36, -v36, v41, v39
	;; [unrolled: 1-line block ×3, first 2 shown]
	v_fmac_f32_e32 v34, s25, v35
	v_fmac_f32_e32 v33, s25, v36
	;; [unrolled: 1-line block ×6, first 2 shown]
	s_branch .LBB4_28
.LBB4_33:                               ;   in Loop: Header=BB4_5 Depth=1
	s_or_b64 exec, exec, s[34:35]
.LBB4_34:                               ;   in Loop: Header=BB4_5 Depth=1
	s_or_b64 exec, exec, s[6:7]
.LBB4_35:                               ;   in Loop: Header=BB4_5 Depth=1
	s_or_b64 exec, exec, s[4:5]
	v_mad_u64_u32 v[19:20], s[0:1], v27, s30, v[16:17]
	v_mov_b32_e32 v4, s17
	v_mad_u64_u32 v[19:20], s[0:1], v19, s29, v[15:16]
	v_mov_b32_e32 v20, v5
	v_lshlrev_b64 v[19:20], 2, v[19:20]
	v_add_co_u32_e32 v28, vcc, s16, v19
	v_addc_co_u32_e32 v29, vcc, v4, v20, vcc
	global_load_dword v4, v[28:29], off
	s_waitcnt vmcnt(0)
	v_cmp_ne_u32_e32 vcc, -1, v4
	s_and_saveexec_b64 s[4:5], vcc
	s_cbranch_execz .LBB4_45
; %bb.36:                               ;   in Loop: Header=BB4_5 Depth=1
	v_mov_b32_e32 v21, s19
	v_add_co_u32_e32 v19, vcc, s18, v19
	v_addc_co_u32_e32 v20, vcc, v21, v20, vcc
	global_load_dword v21, v[19:20], off
	s_waitcnt vmcnt(0)
	v_cmp_lt_u32_e32 vcc, v4, v21
	s_and_saveexec_b64 s[6:7], vcc
	s_cbranch_execz .LBB4_44
; %bb.37:                               ;   in Loop: Header=BB4_5 Depth=1
	v_lshlrev_b64 v[19:20], 4, v[4:5]
	s_mov_b64 s[34:35], 0
	s_mov_b64 s[36:37], s[10:11]
	;; [unrolled: 1-line block ×3, first 2 shown]
	s_branch .LBB4_40
.LBB4_38:                               ;   in Loop: Header=BB4_40 Depth=2
	s_or_b64 exec, exec, s[42:43]
	v_add_f32_e32 v9, 0, v9
	v_add_f32_e32 v8, v8, v32
	;; [unrolled: 1-line block ×4, first 2 shown]
.LBB4_39:                               ;   in Loop: Header=BB4_40 Depth=2
	s_or_b64 exec, exec, s[40:41]
	s_add_u32 s38, s38, 16
	s_addc_u32 s39, s39, 0
	v_add_u32_e32 v4, 1, v4
	s_add_u32 s36, s36, 16
	s_addc_u32 s37, s37, 0
	v_cmp_ge_u32_e32 vcc, v4, v21
	s_or_b64 s[34:35], vcc, s[34:35]
	s_andn2_b64 exec, exec, s[34:35]
	s_cbranch_execz .LBB4_43
.LBB4_40:                               ;   Parent Loop BB4_5 Depth=1
                                        ; =>  This Inner Loop Header: Depth=2
	v_cmp_ne_u32_e32 vcc, v13, v4
	s_and_saveexec_b64 s[40:41], vcc
	s_cbranch_execz .LBB4_39
; %bb.41:                               ;   in Loop: Header=BB4_40 Depth=2
	v_mov_b32_e32 v29, s37
	v_add_co_u32_e32 v28, vcc, s36, v19
	v_addc_co_u32_e32 v29, vcc, v29, v20, vcc
	global_load_dwordx3 v[29:31], v[28:29], off
	v_mov_b32_e32 v33, 0
	s_waitcnt vmcnt(0)
	v_sub_f32_e32 v30, v30, v11
	v_sub_f32_e32 v29, v29, v10
	;; [unrolled: 1-line block ×3, first 2 shown]
	v_mul_f32_e32 v31, v30, v30
	v_fmac_f32_e32 v31, v29, v29
	v_fmac_f32_e32 v31, v28, v28
	v_mul_f32_e32 v32, 0x4f800000, v31
	v_cmp_gt_f32_e32 vcc, s33, v31
	v_cndmask_b32_e32 v31, v31, v32, vcc
	v_sqrt_f32_e32 v34, v31
	v_mov_b32_e32 v32, 0
	v_add_u32_e32 v35, -1, v34
	v_add_u32_e32 v36, 1, v34
	v_fma_f32 v37, -v35, v34, v31
	v_fma_f32 v38, -v36, v34, v31
	v_cmp_ge_f32_e64 s[0:1], 0, v37
	v_cndmask_b32_e64 v34, v34, v35, s[0:1]
	v_cmp_lt_f32_e64 s[0:1], 0, v38
	v_cndmask_b32_e64 v34, v34, v36, s[0:1]
	v_mul_f32_e32 v35, 0x37800000, v34
	v_cndmask_b32_e32 v34, v34, v35, vcc
	v_cmp_class_f32_e32 vcc, v31, v22
	v_cndmask_b32_e32 v31, v34, v31, vcc
	v_cmp_lt_f32_e32 vcc, v31, v23
	v_mov_b32_e32 v34, 0
	s_and_saveexec_b64 s[42:43], vcc
	s_cbranch_execz .LBB4_38
; %bb.42:                               ;   in Loop: Header=BB4_40 Depth=2
	v_mov_b32_e32 v33, s39
	v_add_co_u32_e32 v32, vcc, s38, v19
	v_addc_co_u32_e32 v33, vcc, v33, v20, vcc
	global_load_dwordx3 v[32:34], v[32:33], off
	v_div_scale_f32 v35, s[0:1], v31, v31, v29
	v_div_scale_f32 v36, s[0:1], v31, v31, v30
	;; [unrolled: 1-line block ×3, first 2 shown]
	v_div_scale_f32 v38, vcc, v29, v31, v29
	v_div_scale_f32 v39, s[0:1], v30, v31, v30
	v_div_scale_f32 v40, s[2:3], v28, v31, v28
	v_rcp_f32_e32 v41, v35
	v_rcp_f32_e32 v42, v36
	;; [unrolled: 1-line block ×3, first 2 shown]
	v_fma_f32 v44, -v35, v41, 1.0
	v_fma_f32 v45, -v36, v42, 1.0
	v_fmac_f32_e32 v41, v44, v41
	v_fma_f32 v46, -v37, v43, 1.0
	v_fmac_f32_e32 v42, v45, v42
	v_mul_f32_e32 v44, v38, v41
	v_fmac_f32_e32 v43, v46, v43
	v_mul_f32_e32 v45, v39, v42
	v_fma_f32 v47, -v35, v44, v38
	v_mul_f32_e32 v46, v40, v43
	v_fma_f32 v48, -v36, v45, v39
	v_fmac_f32_e32 v44, v47, v41
	v_fma_f32 v49, -v37, v46, v40
	v_fmac_f32_e32 v45, v48, v42
	;; [unrolled: 2-line block ×3, first 2 shown]
	v_fma_f32 v36, -v36, v45, v39
	v_div_fmas_f32 v35, v35, v41, v44
	s_mov_b64 vcc, s[0:1]
	v_fma_f32 v37, -v37, v46, v40
	v_div_fmas_f32 v36, v36, v42, v45
	s_mov_b64 vcc, s[2:3]
	v_div_fmas_f32 v37, v37, v43, v46
	v_sub_f32_e32 v38, v23, v31
	v_mul_f32_e64 v38, v38, -s27
	v_div_fixup_f32 v35, v35, v31, v29
	v_div_fixup_f32 v36, v36, v31, v30
	;; [unrolled: 1-line block ×3, first 2 shown]
	s_waitcnt vmcnt(0)
	v_sub_f32_e32 v37, v32, v0
	v_sub_f32_e32 v39, v33, v1
	v_mul_f32_e32 v41, v35, v37
	v_sub_f32_e32 v40, v34, v2
	v_fmac_f32_e32 v41, v36, v39
	v_mul_f32_e32 v34, s24, v37
	v_mul_f32_e32 v33, s24, v39
	;; [unrolled: 1-line block ×3, first 2 shown]
	v_fmac_f32_e32 v41, v31, v40
	v_fmac_f32_e32 v34, v35, v38
	;; [unrolled: 1-line block ×4, first 2 shown]
	v_fma_f32 v35, -v35, v41, v37
	v_fma_f32 v36, -v36, v41, v39
	;; [unrolled: 1-line block ×3, first 2 shown]
	v_fmac_f32_e32 v34, s25, v35
	v_fmac_f32_e32 v33, s25, v36
	;; [unrolled: 1-line block ×6, first 2 shown]
	s_branch .LBB4_38
.LBB4_43:                               ;   in Loop: Header=BB4_5 Depth=1
	s_or_b64 exec, exec, s[34:35]
.LBB4_44:                               ;   in Loop: Header=BB4_5 Depth=1
	s_or_b64 exec, exec, s[6:7]
.LBB4_45:                               ;   in Loop: Header=BB4_5 Depth=1
	s_or_b64 exec, exec, s[4:5]
	v_mad_u64_u32 v[19:20], s[0:1], v27, s30, v[16:17]
	v_mov_b32_e32 v4, s17
	v_mad_u64_u32 v[19:20], s[0:1], v19, s29, v[17:18]
	v_mov_b32_e32 v20, v5
	v_lshlrev_b64 v[19:20], 2, v[19:20]
	v_add_co_u32_e32 v28, vcc, s16, v19
	v_addc_co_u32_e32 v29, vcc, v4, v20, vcc
	global_load_dword v4, v[28:29], off
	s_waitcnt vmcnt(0)
	v_cmp_ne_u32_e32 vcc, -1, v4
	s_and_saveexec_b64 s[4:5], vcc
	s_cbranch_execz .LBB4_55
; %bb.46:                               ;   in Loop: Header=BB4_5 Depth=1
	v_mov_b32_e32 v21, s19
	v_add_co_u32_e32 v19, vcc, s18, v19
	v_addc_co_u32_e32 v20, vcc, v21, v20, vcc
	global_load_dword v21, v[19:20], off
	s_waitcnt vmcnt(0)
	v_cmp_lt_u32_e32 vcc, v4, v21
	s_and_saveexec_b64 s[6:7], vcc
	s_cbranch_execz .LBB4_54
; %bb.47:                               ;   in Loop: Header=BB4_5 Depth=1
	v_lshlrev_b64 v[19:20], 4, v[4:5]
	s_mov_b64 s[34:35], 0
	s_mov_b64 s[36:37], s[10:11]
	s_mov_b64 s[38:39], s[12:13]
	s_branch .LBB4_50
.LBB4_48:                               ;   in Loop: Header=BB4_50 Depth=2
	s_or_b64 exec, exec, s[42:43]
	v_add_f32_e32 v9, 0, v9
	v_add_f32_e32 v8, v8, v32
	;; [unrolled: 1-line block ×4, first 2 shown]
.LBB4_49:                               ;   in Loop: Header=BB4_50 Depth=2
	s_or_b64 exec, exec, s[40:41]
	s_add_u32 s38, s38, 16
	s_addc_u32 s39, s39, 0
	v_add_u32_e32 v4, 1, v4
	s_add_u32 s36, s36, 16
	s_addc_u32 s37, s37, 0
	v_cmp_ge_u32_e32 vcc, v4, v21
	s_or_b64 s[34:35], vcc, s[34:35]
	s_andn2_b64 exec, exec, s[34:35]
	s_cbranch_execz .LBB4_53
.LBB4_50:                               ;   Parent Loop BB4_5 Depth=1
                                        ; =>  This Inner Loop Header: Depth=2
	v_cmp_ne_u32_e32 vcc, v13, v4
	s_and_saveexec_b64 s[40:41], vcc
	s_cbranch_execz .LBB4_49
; %bb.51:                               ;   in Loop: Header=BB4_50 Depth=2
	v_mov_b32_e32 v29, s37
	v_add_co_u32_e32 v28, vcc, s36, v19
	v_addc_co_u32_e32 v29, vcc, v29, v20, vcc
	global_load_dwordx3 v[29:31], v[28:29], off
	v_mov_b32_e32 v33, 0
	s_waitcnt vmcnt(0)
	v_sub_f32_e32 v30, v30, v11
	v_sub_f32_e32 v29, v29, v10
	;; [unrolled: 1-line block ×3, first 2 shown]
	v_mul_f32_e32 v31, v30, v30
	v_fmac_f32_e32 v31, v29, v29
	v_fmac_f32_e32 v31, v28, v28
	v_mul_f32_e32 v32, 0x4f800000, v31
	v_cmp_gt_f32_e32 vcc, s33, v31
	v_cndmask_b32_e32 v31, v31, v32, vcc
	v_sqrt_f32_e32 v34, v31
	v_mov_b32_e32 v32, 0
	v_add_u32_e32 v35, -1, v34
	v_add_u32_e32 v36, 1, v34
	v_fma_f32 v37, -v35, v34, v31
	v_fma_f32 v38, -v36, v34, v31
	v_cmp_ge_f32_e64 s[0:1], 0, v37
	v_cndmask_b32_e64 v34, v34, v35, s[0:1]
	v_cmp_lt_f32_e64 s[0:1], 0, v38
	v_cndmask_b32_e64 v34, v34, v36, s[0:1]
	v_mul_f32_e32 v35, 0x37800000, v34
	v_cndmask_b32_e32 v34, v34, v35, vcc
	v_cmp_class_f32_e32 vcc, v31, v22
	v_cndmask_b32_e32 v31, v34, v31, vcc
	v_cmp_lt_f32_e32 vcc, v31, v23
	v_mov_b32_e32 v34, 0
	s_and_saveexec_b64 s[42:43], vcc
	s_cbranch_execz .LBB4_48
; %bb.52:                               ;   in Loop: Header=BB4_50 Depth=2
	v_mov_b32_e32 v33, s39
	v_add_co_u32_e32 v32, vcc, s38, v19
	v_addc_co_u32_e32 v33, vcc, v33, v20, vcc
	global_load_dwordx3 v[32:34], v[32:33], off
	v_div_scale_f32 v35, s[0:1], v31, v31, v29
	v_div_scale_f32 v36, s[0:1], v31, v31, v30
	;; [unrolled: 1-line block ×3, first 2 shown]
	v_div_scale_f32 v38, vcc, v29, v31, v29
	v_div_scale_f32 v39, s[0:1], v30, v31, v30
	v_div_scale_f32 v40, s[2:3], v28, v31, v28
	v_rcp_f32_e32 v41, v35
	v_rcp_f32_e32 v42, v36
	v_rcp_f32_e32 v43, v37
	v_fma_f32 v44, -v35, v41, 1.0
	v_fma_f32 v45, -v36, v42, 1.0
	v_fmac_f32_e32 v41, v44, v41
	v_fma_f32 v46, -v37, v43, 1.0
	v_fmac_f32_e32 v42, v45, v42
	v_mul_f32_e32 v44, v38, v41
	v_fmac_f32_e32 v43, v46, v43
	v_mul_f32_e32 v45, v39, v42
	v_fma_f32 v47, -v35, v44, v38
	v_mul_f32_e32 v46, v40, v43
	v_fma_f32 v48, -v36, v45, v39
	v_fmac_f32_e32 v44, v47, v41
	v_fma_f32 v49, -v37, v46, v40
	v_fmac_f32_e32 v45, v48, v42
	;; [unrolled: 2-line block ×3, first 2 shown]
	v_fma_f32 v36, -v36, v45, v39
	v_div_fmas_f32 v35, v35, v41, v44
	s_mov_b64 vcc, s[0:1]
	v_fma_f32 v37, -v37, v46, v40
	v_div_fmas_f32 v36, v36, v42, v45
	s_mov_b64 vcc, s[2:3]
	v_div_fmas_f32 v37, v37, v43, v46
	v_sub_f32_e32 v38, v23, v31
	v_mul_f32_e64 v38, v38, -s27
	v_div_fixup_f32 v35, v35, v31, v29
	v_div_fixup_f32 v36, v36, v31, v30
	v_div_fixup_f32 v31, v37, v31, v28
	s_waitcnt vmcnt(0)
	v_sub_f32_e32 v37, v32, v0
	v_sub_f32_e32 v39, v33, v1
	v_mul_f32_e32 v41, v35, v37
	v_sub_f32_e32 v40, v34, v2
	v_fmac_f32_e32 v41, v36, v39
	v_mul_f32_e32 v34, s24, v37
	v_mul_f32_e32 v33, s24, v39
	v_mul_f32_e32 v32, s24, v40
	v_fmac_f32_e32 v41, v31, v40
	v_fmac_f32_e32 v34, v35, v38
	;; [unrolled: 1-line block ×4, first 2 shown]
	v_fma_f32 v35, -v35, v41, v37
	v_fma_f32 v36, -v36, v41, v39
	;; [unrolled: 1-line block ×3, first 2 shown]
	v_fmac_f32_e32 v34, s25, v35
	v_fmac_f32_e32 v33, s25, v36
	;; [unrolled: 1-line block ×6, first 2 shown]
	s_branch .LBB4_48
.LBB4_53:                               ;   in Loop: Header=BB4_5 Depth=1
	s_or_b64 exec, exec, s[34:35]
.LBB4_54:                               ;   in Loop: Header=BB4_5 Depth=1
	s_or_b64 exec, exec, s[6:7]
.LBB4_55:                               ;   in Loop: Header=BB4_5 Depth=1
	s_or_b64 exec, exec, s[4:5]
	v_mad_u64_u32 v[19:20], s[0:1], v27, s30, v[16:17]
	v_mov_b32_e32 v4, s17
	v_mad_u64_u32 v[19:20], s[0:1], v19, s29, v[18:19]
	v_mov_b32_e32 v20, v5
	v_lshlrev_b64 v[19:20], 2, v[19:20]
	v_add_co_u32_e32 v28, vcc, s16, v19
	v_addc_co_u32_e32 v29, vcc, v4, v20, vcc
	global_load_dword v4, v[28:29], off
	s_waitcnt vmcnt(0)
	v_cmp_ne_u32_e32 vcc, -1, v4
	s_and_saveexec_b64 s[4:5], vcc
	s_cbranch_execz .LBB4_65
; %bb.56:                               ;   in Loop: Header=BB4_5 Depth=1
	v_mov_b32_e32 v21, s19
	v_add_co_u32_e32 v19, vcc, s18, v19
	v_addc_co_u32_e32 v20, vcc, v21, v20, vcc
	global_load_dword v21, v[19:20], off
	s_waitcnt vmcnt(0)
	v_cmp_lt_u32_e32 vcc, v4, v21
	s_and_saveexec_b64 s[6:7], vcc
	s_cbranch_execz .LBB4_64
; %bb.57:                               ;   in Loop: Header=BB4_5 Depth=1
	v_lshlrev_b64 v[19:20], 4, v[4:5]
	s_mov_b64 s[34:35], 0
	s_mov_b64 s[36:37], s[10:11]
	;; [unrolled: 1-line block ×3, first 2 shown]
	s_branch .LBB4_60
.LBB4_58:                               ;   in Loop: Header=BB4_60 Depth=2
	s_or_b64 exec, exec, s[42:43]
	v_add_f32_e32 v9, 0, v9
	v_add_f32_e32 v8, v8, v32
	;; [unrolled: 1-line block ×4, first 2 shown]
.LBB4_59:                               ;   in Loop: Header=BB4_60 Depth=2
	s_or_b64 exec, exec, s[40:41]
	s_add_u32 s38, s38, 16
	s_addc_u32 s39, s39, 0
	v_add_u32_e32 v4, 1, v4
	s_add_u32 s36, s36, 16
	s_addc_u32 s37, s37, 0
	v_cmp_ge_u32_e32 vcc, v4, v21
	s_or_b64 s[34:35], vcc, s[34:35]
	s_andn2_b64 exec, exec, s[34:35]
	s_cbranch_execz .LBB4_63
.LBB4_60:                               ;   Parent Loop BB4_5 Depth=1
                                        ; =>  This Inner Loop Header: Depth=2
	v_cmp_ne_u32_e32 vcc, v13, v4
	s_and_saveexec_b64 s[40:41], vcc
	s_cbranch_execz .LBB4_59
; %bb.61:                               ;   in Loop: Header=BB4_60 Depth=2
	v_mov_b32_e32 v29, s37
	v_add_co_u32_e32 v28, vcc, s36, v19
	v_addc_co_u32_e32 v29, vcc, v29, v20, vcc
	global_load_dwordx3 v[29:31], v[28:29], off
	v_mov_b32_e32 v33, 0
	s_waitcnt vmcnt(0)
	v_sub_f32_e32 v30, v30, v11
	v_sub_f32_e32 v29, v29, v10
	;; [unrolled: 1-line block ×3, first 2 shown]
	v_mul_f32_e32 v31, v30, v30
	v_fmac_f32_e32 v31, v29, v29
	v_fmac_f32_e32 v31, v28, v28
	v_mul_f32_e32 v32, 0x4f800000, v31
	v_cmp_gt_f32_e32 vcc, s33, v31
	v_cndmask_b32_e32 v31, v31, v32, vcc
	v_sqrt_f32_e32 v34, v31
	v_mov_b32_e32 v32, 0
	v_add_u32_e32 v35, -1, v34
	v_add_u32_e32 v36, 1, v34
	v_fma_f32 v37, -v35, v34, v31
	v_fma_f32 v38, -v36, v34, v31
	v_cmp_ge_f32_e64 s[0:1], 0, v37
	v_cndmask_b32_e64 v34, v34, v35, s[0:1]
	v_cmp_lt_f32_e64 s[0:1], 0, v38
	v_cndmask_b32_e64 v34, v34, v36, s[0:1]
	v_mul_f32_e32 v35, 0x37800000, v34
	v_cndmask_b32_e32 v34, v34, v35, vcc
	v_cmp_class_f32_e32 vcc, v31, v22
	v_cndmask_b32_e32 v31, v34, v31, vcc
	v_cmp_lt_f32_e32 vcc, v31, v23
	v_mov_b32_e32 v34, 0
	s_and_saveexec_b64 s[42:43], vcc
	s_cbranch_execz .LBB4_58
; %bb.62:                               ;   in Loop: Header=BB4_60 Depth=2
	v_mov_b32_e32 v33, s39
	v_add_co_u32_e32 v32, vcc, s38, v19
	v_addc_co_u32_e32 v33, vcc, v33, v20, vcc
	global_load_dwordx3 v[32:34], v[32:33], off
	v_div_scale_f32 v35, s[0:1], v31, v31, v29
	v_div_scale_f32 v36, s[0:1], v31, v31, v30
	;; [unrolled: 1-line block ×3, first 2 shown]
	v_div_scale_f32 v38, vcc, v29, v31, v29
	v_div_scale_f32 v39, s[0:1], v30, v31, v30
	v_div_scale_f32 v40, s[2:3], v28, v31, v28
	v_rcp_f32_e32 v41, v35
	v_rcp_f32_e32 v42, v36
	;; [unrolled: 1-line block ×3, first 2 shown]
	v_fma_f32 v44, -v35, v41, 1.0
	v_fma_f32 v45, -v36, v42, 1.0
	v_fmac_f32_e32 v41, v44, v41
	v_fma_f32 v46, -v37, v43, 1.0
	v_fmac_f32_e32 v42, v45, v42
	v_mul_f32_e32 v44, v38, v41
	v_fmac_f32_e32 v43, v46, v43
	v_mul_f32_e32 v45, v39, v42
	v_fma_f32 v47, -v35, v44, v38
	v_mul_f32_e32 v46, v40, v43
	v_fma_f32 v48, -v36, v45, v39
	v_fmac_f32_e32 v44, v47, v41
	v_fma_f32 v49, -v37, v46, v40
	v_fmac_f32_e32 v45, v48, v42
	;; [unrolled: 2-line block ×3, first 2 shown]
	v_fma_f32 v36, -v36, v45, v39
	v_div_fmas_f32 v35, v35, v41, v44
	s_mov_b64 vcc, s[0:1]
	v_fma_f32 v37, -v37, v46, v40
	v_div_fmas_f32 v36, v36, v42, v45
	s_mov_b64 vcc, s[2:3]
	v_div_fmas_f32 v37, v37, v43, v46
	v_sub_f32_e32 v38, v23, v31
	v_mul_f32_e64 v38, v38, -s27
	v_div_fixup_f32 v35, v35, v31, v29
	v_div_fixup_f32 v36, v36, v31, v30
	;; [unrolled: 1-line block ×3, first 2 shown]
	s_waitcnt vmcnt(0)
	v_sub_f32_e32 v37, v32, v0
	v_sub_f32_e32 v39, v33, v1
	v_mul_f32_e32 v41, v35, v37
	v_sub_f32_e32 v40, v34, v2
	v_fmac_f32_e32 v41, v36, v39
	v_mul_f32_e32 v34, s24, v37
	v_mul_f32_e32 v33, s24, v39
	;; [unrolled: 1-line block ×3, first 2 shown]
	v_fmac_f32_e32 v41, v31, v40
	v_fmac_f32_e32 v34, v35, v38
	;; [unrolled: 1-line block ×4, first 2 shown]
	v_fma_f32 v35, -v35, v41, v37
	v_fma_f32 v36, -v36, v41, v39
	;; [unrolled: 1-line block ×3, first 2 shown]
	v_fmac_f32_e32 v34, s25, v35
	v_fmac_f32_e32 v33, s25, v36
	;; [unrolled: 1-line block ×6, first 2 shown]
	s_branch .LBB4_58
.LBB4_63:                               ;   in Loop: Header=BB4_5 Depth=1
	s_or_b64 exec, exec, s[34:35]
.LBB4_64:                               ;   in Loop: Header=BB4_5 Depth=1
	s_or_b64 exec, exec, s[6:7]
.LBB4_65:                               ;   in Loop: Header=BB4_5 Depth=1
	s_or_b64 exec, exec, s[4:5]
	v_add_u32_e32 v4, 1, v25
	v_and_b32_e32 v19, s45, v4
	v_mad_u64_u32 v[20:21], s[0:1], v27, s30, v[19:20]
	v_mov_b32_e32 v4, s17
	v_mad_u64_u32 v[20:21], s[0:1], v20, s29, v[15:16]
	v_mov_b32_e32 v21, v5
	v_lshlrev_b64 v[20:21], 2, v[20:21]
	v_add_co_u32_e32 v28, vcc, s16, v20
	v_addc_co_u32_e32 v29, vcc, v4, v21, vcc
	global_load_dword v4, v[28:29], off
	s_waitcnt vmcnt(0)
	v_cmp_ne_u32_e32 vcc, -1, v4
	s_and_saveexec_b64 s[4:5], vcc
	s_cbranch_execz .LBB4_75
; %bb.66:                               ;   in Loop: Header=BB4_5 Depth=1
	v_mov_b32_e32 v28, s19
	v_add_co_u32_e32 v20, vcc, s18, v20
	v_addc_co_u32_e32 v21, vcc, v28, v21, vcc
	global_load_dword v28, v[20:21], off
	s_waitcnt vmcnt(0)
	v_cmp_lt_u32_e32 vcc, v4, v28
	s_and_saveexec_b64 s[6:7], vcc
	s_cbranch_execz .LBB4_74
; %bb.67:                               ;   in Loop: Header=BB4_5 Depth=1
	v_lshlrev_b64 v[20:21], 4, v[4:5]
	s_mov_b64 s[34:35], 0
	s_mov_b64 s[36:37], s[10:11]
	;; [unrolled: 1-line block ×3, first 2 shown]
	s_branch .LBB4_70
.LBB4_68:                               ;   in Loop: Header=BB4_70 Depth=2
	s_or_b64 exec, exec, s[42:43]
	v_add_f32_e32 v9, 0, v9
	v_add_f32_e32 v8, v8, v33
	;; [unrolled: 1-line block ×4, first 2 shown]
.LBB4_69:                               ;   in Loop: Header=BB4_70 Depth=2
	s_or_b64 exec, exec, s[40:41]
	s_add_u32 s38, s38, 16
	s_addc_u32 s39, s39, 0
	v_add_u32_e32 v4, 1, v4
	s_add_u32 s36, s36, 16
	s_addc_u32 s37, s37, 0
	v_cmp_ge_u32_e32 vcc, v4, v28
	s_or_b64 s[34:35], vcc, s[34:35]
	s_andn2_b64 exec, exec, s[34:35]
	s_cbranch_execz .LBB4_73
.LBB4_70:                               ;   Parent Loop BB4_5 Depth=1
                                        ; =>  This Inner Loop Header: Depth=2
	v_cmp_ne_u32_e32 vcc, v13, v4
	s_and_saveexec_b64 s[40:41], vcc
	s_cbranch_execz .LBB4_69
; %bb.71:                               ;   in Loop: Header=BB4_70 Depth=2
	v_mov_b32_e32 v30, s37
	v_add_co_u32_e32 v29, vcc, s36, v20
	v_addc_co_u32_e32 v30, vcc, v30, v21, vcc
	global_load_dwordx3 v[30:32], v[29:30], off
	v_mov_b32_e32 v34, 0
	s_waitcnt vmcnt(0)
	v_sub_f32_e32 v31, v31, v11
	v_sub_f32_e32 v30, v30, v10
	;; [unrolled: 1-line block ×3, first 2 shown]
	v_mul_f32_e32 v32, v31, v31
	v_fmac_f32_e32 v32, v30, v30
	v_fmac_f32_e32 v32, v29, v29
	v_mul_f32_e32 v33, 0x4f800000, v32
	v_cmp_gt_f32_e32 vcc, s33, v32
	v_cndmask_b32_e32 v32, v32, v33, vcc
	v_sqrt_f32_e32 v35, v32
	v_mov_b32_e32 v33, 0
	v_add_u32_e32 v36, -1, v35
	v_add_u32_e32 v37, 1, v35
	v_fma_f32 v38, -v36, v35, v32
	v_fma_f32 v39, -v37, v35, v32
	v_cmp_ge_f32_e64 s[0:1], 0, v38
	v_cndmask_b32_e64 v35, v35, v36, s[0:1]
	v_cmp_lt_f32_e64 s[0:1], 0, v39
	v_cndmask_b32_e64 v35, v35, v37, s[0:1]
	v_mul_f32_e32 v36, 0x37800000, v35
	v_cndmask_b32_e32 v35, v35, v36, vcc
	v_cmp_class_f32_e32 vcc, v32, v22
	v_cndmask_b32_e32 v32, v35, v32, vcc
	v_cmp_lt_f32_e32 vcc, v32, v23
	v_mov_b32_e32 v35, 0
	s_and_saveexec_b64 s[42:43], vcc
	s_cbranch_execz .LBB4_68
; %bb.72:                               ;   in Loop: Header=BB4_70 Depth=2
	v_mov_b32_e32 v34, s39
	v_add_co_u32_e32 v33, vcc, s38, v20
	v_addc_co_u32_e32 v34, vcc, v34, v21, vcc
	global_load_dwordx3 v[33:35], v[33:34], off
	v_div_scale_f32 v36, s[0:1], v32, v32, v30
	v_div_scale_f32 v37, s[0:1], v32, v32, v31
	;; [unrolled: 1-line block ×3, first 2 shown]
	v_div_scale_f32 v39, vcc, v30, v32, v30
	v_div_scale_f32 v40, s[0:1], v31, v32, v31
	v_div_scale_f32 v41, s[2:3], v29, v32, v29
	v_rcp_f32_e32 v42, v36
	v_rcp_f32_e32 v43, v37
	;; [unrolled: 1-line block ×3, first 2 shown]
	v_fma_f32 v45, -v36, v42, 1.0
	v_fma_f32 v46, -v37, v43, 1.0
	v_fmac_f32_e32 v42, v45, v42
	v_fma_f32 v47, -v38, v44, 1.0
	v_fmac_f32_e32 v43, v46, v43
	v_mul_f32_e32 v45, v39, v42
	v_fmac_f32_e32 v44, v47, v44
	v_mul_f32_e32 v46, v40, v43
	v_fma_f32 v48, -v36, v45, v39
	v_mul_f32_e32 v47, v41, v44
	v_fma_f32 v49, -v37, v46, v40
	v_fmac_f32_e32 v45, v48, v42
	v_fma_f32 v50, -v38, v47, v41
	v_fmac_f32_e32 v46, v49, v43
	;; [unrolled: 2-line block ×3, first 2 shown]
	v_fma_f32 v37, -v37, v46, v40
	v_div_fmas_f32 v36, v36, v42, v45
	s_mov_b64 vcc, s[0:1]
	v_fma_f32 v38, -v38, v47, v41
	v_div_fmas_f32 v37, v37, v43, v46
	s_mov_b64 vcc, s[2:3]
	v_div_fmas_f32 v38, v38, v44, v47
	v_sub_f32_e32 v39, v23, v32
	v_mul_f32_e64 v39, v39, -s27
	v_div_fixup_f32 v36, v36, v32, v30
	v_div_fixup_f32 v37, v37, v32, v31
	v_div_fixup_f32 v32, v38, v32, v29
	s_waitcnt vmcnt(0)
	v_sub_f32_e32 v38, v33, v0
	v_sub_f32_e32 v40, v34, v1
	v_mul_f32_e32 v42, v36, v38
	v_sub_f32_e32 v41, v35, v2
	v_fmac_f32_e32 v42, v37, v40
	v_mul_f32_e32 v35, s24, v38
	v_mul_f32_e32 v34, s24, v40
	;; [unrolled: 1-line block ×3, first 2 shown]
	v_fmac_f32_e32 v42, v32, v41
	v_fmac_f32_e32 v35, v36, v39
	;; [unrolled: 1-line block ×4, first 2 shown]
	v_fma_f32 v36, -v36, v42, v38
	v_fma_f32 v37, -v37, v42, v40
	v_fma_f32 v32, -v32, v42, v41
	v_fmac_f32_e32 v35, s25, v36
	v_fmac_f32_e32 v34, s25, v37
	;; [unrolled: 1-line block ×6, first 2 shown]
	s_branch .LBB4_68
.LBB4_73:                               ;   in Loop: Header=BB4_5 Depth=1
	s_or_b64 exec, exec, s[34:35]
.LBB4_74:                               ;   in Loop: Header=BB4_5 Depth=1
	s_or_b64 exec, exec, s[6:7]
.LBB4_75:                               ;   in Loop: Header=BB4_5 Depth=1
	s_or_b64 exec, exec, s[4:5]
	v_mad_u64_u32 v[20:21], s[0:1], v27, s30, v[19:20]
	v_mov_b32_e32 v4, s17
	v_mad_u64_u32 v[20:21], s[0:1], v20, s29, v[17:18]
	v_mov_b32_e32 v21, v5
	v_lshlrev_b64 v[20:21], 2, v[20:21]
	v_add_co_u32_e32 v28, vcc, s16, v20
	v_addc_co_u32_e32 v29, vcc, v4, v21, vcc
	global_load_dword v4, v[28:29], off
	s_waitcnt vmcnt(0)
	v_cmp_ne_u32_e32 vcc, -1, v4
	s_and_saveexec_b64 s[4:5], vcc
	s_cbranch_execz .LBB4_85
; %bb.76:                               ;   in Loop: Header=BB4_5 Depth=1
	v_mov_b32_e32 v17, s19
	v_add_co_u32_e32 v20, vcc, s18, v20
	v_addc_co_u32_e32 v21, vcc, v17, v21, vcc
	global_load_dword v17, v[20:21], off
	s_waitcnt vmcnt(0)
	v_cmp_lt_u32_e32 vcc, v4, v17
	s_and_saveexec_b64 s[6:7], vcc
	s_cbranch_execz .LBB4_84
; %bb.77:                               ;   in Loop: Header=BB4_5 Depth=1
	v_lshlrev_b64 v[20:21], 4, v[4:5]
	s_mov_b64 s[34:35], 0
	s_mov_b64 s[36:37], s[10:11]
	;; [unrolled: 1-line block ×3, first 2 shown]
	s_branch .LBB4_80
.LBB4_78:                               ;   in Loop: Header=BB4_80 Depth=2
	s_or_b64 exec, exec, s[42:43]
	v_add_f32_e32 v9, 0, v9
	v_add_f32_e32 v8, v8, v32
	v_add_f32_e32 v7, v7, v33
	v_add_f32_e32 v6, v6, v34
.LBB4_79:                               ;   in Loop: Header=BB4_80 Depth=2
	s_or_b64 exec, exec, s[40:41]
	s_add_u32 s38, s38, 16
	s_addc_u32 s39, s39, 0
	v_add_u32_e32 v4, 1, v4
	s_add_u32 s36, s36, 16
	s_addc_u32 s37, s37, 0
	v_cmp_ge_u32_e32 vcc, v4, v17
	s_or_b64 s[34:35], vcc, s[34:35]
	s_andn2_b64 exec, exec, s[34:35]
	s_cbranch_execz .LBB4_83
.LBB4_80:                               ;   Parent Loop BB4_5 Depth=1
                                        ; =>  This Inner Loop Header: Depth=2
	v_cmp_ne_u32_e32 vcc, v13, v4
	s_and_saveexec_b64 s[40:41], vcc
	s_cbranch_execz .LBB4_79
; %bb.81:                               ;   in Loop: Header=BB4_80 Depth=2
	v_mov_b32_e32 v29, s37
	v_add_co_u32_e32 v28, vcc, s36, v20
	v_addc_co_u32_e32 v29, vcc, v29, v21, vcc
	global_load_dwordx3 v[29:31], v[28:29], off
	v_mov_b32_e32 v33, 0
	s_waitcnt vmcnt(0)
	v_sub_f32_e32 v30, v30, v11
	v_sub_f32_e32 v29, v29, v10
	;; [unrolled: 1-line block ×3, first 2 shown]
	v_mul_f32_e32 v31, v30, v30
	v_fmac_f32_e32 v31, v29, v29
	v_fmac_f32_e32 v31, v28, v28
	v_mul_f32_e32 v32, 0x4f800000, v31
	v_cmp_gt_f32_e32 vcc, s33, v31
	v_cndmask_b32_e32 v31, v31, v32, vcc
	v_sqrt_f32_e32 v34, v31
	v_mov_b32_e32 v32, 0
	v_add_u32_e32 v35, -1, v34
	v_add_u32_e32 v36, 1, v34
	v_fma_f32 v37, -v35, v34, v31
	v_fma_f32 v38, -v36, v34, v31
	v_cmp_ge_f32_e64 s[0:1], 0, v37
	v_cndmask_b32_e64 v34, v34, v35, s[0:1]
	v_cmp_lt_f32_e64 s[0:1], 0, v38
	v_cndmask_b32_e64 v34, v34, v36, s[0:1]
	v_mul_f32_e32 v35, 0x37800000, v34
	v_cndmask_b32_e32 v34, v34, v35, vcc
	v_cmp_class_f32_e32 vcc, v31, v22
	v_cndmask_b32_e32 v31, v34, v31, vcc
	v_cmp_lt_f32_e32 vcc, v31, v23
	v_mov_b32_e32 v34, 0
	s_and_saveexec_b64 s[42:43], vcc
	s_cbranch_execz .LBB4_78
; %bb.82:                               ;   in Loop: Header=BB4_80 Depth=2
	v_mov_b32_e32 v33, s39
	v_add_co_u32_e32 v32, vcc, s38, v20
	v_addc_co_u32_e32 v33, vcc, v33, v21, vcc
	global_load_dwordx3 v[32:34], v[32:33], off
	v_div_scale_f32 v35, s[0:1], v31, v31, v29
	v_div_scale_f32 v36, s[0:1], v31, v31, v30
	;; [unrolled: 1-line block ×3, first 2 shown]
	v_div_scale_f32 v38, vcc, v29, v31, v29
	v_div_scale_f32 v39, s[0:1], v30, v31, v30
	v_div_scale_f32 v40, s[2:3], v28, v31, v28
	v_rcp_f32_e32 v41, v35
	v_rcp_f32_e32 v42, v36
	;; [unrolled: 1-line block ×3, first 2 shown]
	v_fma_f32 v44, -v35, v41, 1.0
	v_fma_f32 v45, -v36, v42, 1.0
	v_fmac_f32_e32 v41, v44, v41
	v_fma_f32 v46, -v37, v43, 1.0
	v_fmac_f32_e32 v42, v45, v42
	v_mul_f32_e32 v44, v38, v41
	v_fmac_f32_e32 v43, v46, v43
	v_mul_f32_e32 v45, v39, v42
	v_fma_f32 v47, -v35, v44, v38
	v_mul_f32_e32 v46, v40, v43
	v_fma_f32 v48, -v36, v45, v39
	v_fmac_f32_e32 v44, v47, v41
	v_fma_f32 v49, -v37, v46, v40
	v_fmac_f32_e32 v45, v48, v42
	;; [unrolled: 2-line block ×3, first 2 shown]
	v_fma_f32 v36, -v36, v45, v39
	v_div_fmas_f32 v35, v35, v41, v44
	s_mov_b64 vcc, s[0:1]
	v_fma_f32 v37, -v37, v46, v40
	v_div_fmas_f32 v36, v36, v42, v45
	s_mov_b64 vcc, s[2:3]
	v_div_fmas_f32 v37, v37, v43, v46
	v_sub_f32_e32 v38, v23, v31
	v_mul_f32_e64 v38, v38, -s27
	v_div_fixup_f32 v35, v35, v31, v29
	v_div_fixup_f32 v36, v36, v31, v30
	;; [unrolled: 1-line block ×3, first 2 shown]
	s_waitcnt vmcnt(0)
	v_sub_f32_e32 v37, v32, v0
	v_sub_f32_e32 v39, v33, v1
	v_mul_f32_e32 v41, v35, v37
	v_sub_f32_e32 v40, v34, v2
	v_fmac_f32_e32 v41, v36, v39
	v_mul_f32_e32 v34, s24, v37
	v_mul_f32_e32 v33, s24, v39
	;; [unrolled: 1-line block ×3, first 2 shown]
	v_fmac_f32_e32 v41, v31, v40
	v_fmac_f32_e32 v34, v35, v38
	;; [unrolled: 1-line block ×4, first 2 shown]
	v_fma_f32 v35, -v35, v41, v37
	v_fma_f32 v36, -v36, v41, v39
	;; [unrolled: 1-line block ×3, first 2 shown]
	v_fmac_f32_e32 v34, s25, v35
	v_fmac_f32_e32 v33, s25, v36
	v_fmac_f32_e32 v32, s25, v31
	v_fmac_f32_e32 v34, s26, v29
	v_fmac_f32_e32 v33, s26, v30
	v_fmac_f32_e32 v32, s26, v28
	s_branch .LBB4_78
.LBB4_83:                               ;   in Loop: Header=BB4_5 Depth=1
	s_or_b64 exec, exec, s[34:35]
.LBB4_84:                               ;   in Loop: Header=BB4_5 Depth=1
	s_or_b64 exec, exec, s[6:7]
.LBB4_85:                               ;   in Loop: Header=BB4_5 Depth=1
	s_or_b64 exec, exec, s[4:5]
	v_mad_u64_u32 v[19:20], s[0:1], v27, s30, v[19:20]
	v_mov_b32_e32 v4, s17
	v_mad_u64_u32 v[17:18], s[0:1], v19, s29, v[18:19]
	v_mov_b32_e32 v18, v5
	v_lshlrev_b64 v[17:18], 2, v[17:18]
	v_add_co_u32_e32 v19, vcc, s16, v17
	v_addc_co_u32_e32 v20, vcc, v4, v18, vcc
	global_load_dword v4, v[19:20], off
	s_waitcnt vmcnt(0)
	v_cmp_ne_u32_e32 vcc, -1, v4
	s_and_saveexec_b64 s[4:5], vcc
	s_cbranch_execz .LBB4_4
; %bb.86:                               ;   in Loop: Header=BB4_5 Depth=1
	v_mov_b32_e32 v19, s19
	v_add_co_u32_e32 v17, vcc, s18, v17
	v_addc_co_u32_e32 v18, vcc, v19, v18, vcc
	global_load_dword v19, v[17:18], off
	s_waitcnt vmcnt(0)
	v_cmp_lt_u32_e32 vcc, v4, v19
	s_and_saveexec_b64 s[6:7], vcc
	s_cbranch_execz .LBB4_3
; %bb.87:                               ;   in Loop: Header=BB4_5 Depth=1
	v_lshlrev_b64 v[17:18], 4, v[4:5]
	s_mov_b64 s[34:35], 0
	s_mov_b64 s[36:37], s[10:11]
	;; [unrolled: 1-line block ×3, first 2 shown]
	s_branch .LBB4_90
.LBB4_88:                               ;   in Loop: Header=BB4_90 Depth=2
	s_or_b64 exec, exec, s[42:43]
	v_add_f32_e32 v9, 0, v9
	v_add_f32_e32 v8, v8, v29
	;; [unrolled: 1-line block ×4, first 2 shown]
.LBB4_89:                               ;   in Loop: Header=BB4_90 Depth=2
	s_or_b64 exec, exec, s[40:41]
	s_add_u32 s38, s38, 16
	s_addc_u32 s39, s39, 0
	v_add_u32_e32 v4, 1, v4
	s_add_u32 s36, s36, 16
	s_addc_u32 s37, s37, 0
	v_cmp_ge_u32_e32 vcc, v4, v19
	s_or_b64 s[34:35], vcc, s[34:35]
	s_andn2_b64 exec, exec, s[34:35]
	s_cbranch_execz .LBB4_2
.LBB4_90:                               ;   Parent Loop BB4_5 Depth=1
                                        ; =>  This Inner Loop Header: Depth=2
	v_cmp_ne_u32_e32 vcc, v13, v4
	s_and_saveexec_b64 s[40:41], vcc
	s_cbranch_execz .LBB4_89
; %bb.91:                               ;   in Loop: Header=BB4_90 Depth=2
	v_mov_b32_e32 v21, s37
	v_add_co_u32_e32 v20, vcc, s36, v17
	v_addc_co_u32_e32 v21, vcc, v21, v18, vcc
	global_load_dwordx3 v[27:29], v[20:21], off
	v_mov_b32_e32 v30, 0
	s_waitcnt vmcnt(0)
	v_sub_f32_e32 v21, v27, v10
	v_sub_f32_e32 v27, v28, v11
	v_mul_f32_e32 v28, v27, v27
	v_sub_f32_e32 v20, v29, v12
	v_fmac_f32_e32 v28, v21, v21
	v_fmac_f32_e32 v28, v20, v20
	v_mul_f32_e32 v29, 0x4f800000, v28
	v_cmp_gt_f32_e32 vcc, s33, v28
	v_cndmask_b32_e32 v28, v28, v29, vcc
	v_sqrt_f32_e32 v31, v28
	v_mov_b32_e32 v29, 0
	v_add_u32_e32 v32, -1, v31
	v_add_u32_e32 v33, 1, v31
	v_fma_f32 v34, -v32, v31, v28
	v_fma_f32 v35, -v33, v31, v28
	v_cmp_ge_f32_e64 s[0:1], 0, v34
	v_cndmask_b32_e64 v31, v31, v32, s[0:1]
	v_cmp_lt_f32_e64 s[0:1], 0, v35
	v_cndmask_b32_e64 v31, v31, v33, s[0:1]
	v_mul_f32_e32 v32, 0x37800000, v31
	v_cndmask_b32_e32 v31, v31, v32, vcc
	v_cmp_class_f32_e32 vcc, v28, v22
	v_cndmask_b32_e32 v28, v31, v28, vcc
	v_cmp_lt_f32_e32 vcc, v28, v23
	v_mov_b32_e32 v31, 0
	s_and_saveexec_b64 s[42:43], vcc
	s_cbranch_execz .LBB4_88
; %bb.92:                               ;   in Loop: Header=BB4_90 Depth=2
	v_mov_b32_e32 v30, s39
	v_add_co_u32_e32 v29, vcc, s38, v17
	v_addc_co_u32_e32 v30, vcc, v30, v18, vcc
	global_load_dwordx3 v[29:31], v[29:30], off
	v_div_scale_f32 v32, s[0:1], v28, v28, v21
	v_div_scale_f32 v33, s[0:1], v28, v28, v27
	;; [unrolled: 1-line block ×3, first 2 shown]
	v_div_scale_f32 v35, vcc, v21, v28, v21
	v_div_scale_f32 v36, s[0:1], v27, v28, v27
	v_div_scale_f32 v37, s[2:3], v20, v28, v20
	v_rcp_f32_e32 v38, v32
	v_rcp_f32_e32 v39, v33
	;; [unrolled: 1-line block ×3, first 2 shown]
	v_fma_f32 v41, -v32, v38, 1.0
	v_fma_f32 v42, -v33, v39, 1.0
	v_fmac_f32_e32 v38, v41, v38
	v_fma_f32 v43, -v34, v40, 1.0
	v_fmac_f32_e32 v39, v42, v39
	v_mul_f32_e32 v41, v35, v38
	v_fmac_f32_e32 v40, v43, v40
	v_mul_f32_e32 v42, v36, v39
	v_fma_f32 v44, -v32, v41, v35
	v_mul_f32_e32 v43, v37, v40
	v_fma_f32 v45, -v33, v42, v36
	v_fmac_f32_e32 v41, v44, v38
	v_fma_f32 v46, -v34, v43, v37
	v_fmac_f32_e32 v42, v45, v39
	;; [unrolled: 2-line block ×3, first 2 shown]
	v_fma_f32 v33, -v33, v42, v36
	v_div_fmas_f32 v32, v32, v38, v41
	s_mov_b64 vcc, s[0:1]
	v_fma_f32 v34, -v34, v43, v37
	v_div_fmas_f32 v33, v33, v39, v42
	s_mov_b64 vcc, s[2:3]
	v_div_fmas_f32 v34, v34, v40, v43
	v_sub_f32_e32 v35, v23, v28
	v_mul_f32_e64 v35, v35, -s27
	v_div_fixup_f32 v32, v32, v28, v21
	v_div_fixup_f32 v33, v33, v28, v27
	;; [unrolled: 1-line block ×3, first 2 shown]
	s_waitcnt vmcnt(0)
	v_sub_f32_e32 v34, v29, v0
	v_sub_f32_e32 v36, v30, v1
	v_mul_f32_e32 v38, v32, v34
	v_sub_f32_e32 v37, v31, v2
	v_fmac_f32_e32 v38, v33, v36
	v_mul_f32_e32 v31, s24, v34
	v_mul_f32_e32 v30, s24, v36
	;; [unrolled: 1-line block ×3, first 2 shown]
	v_fmac_f32_e32 v38, v28, v37
	v_fmac_f32_e32 v31, v32, v35
	;; [unrolled: 1-line block ×4, first 2 shown]
	v_fma_f32 v32, -v32, v38, v34
	v_fma_f32 v33, -v33, v38, v36
	;; [unrolled: 1-line block ×3, first 2 shown]
	v_fmac_f32_e32 v31, s25, v32
	v_fmac_f32_e32 v30, s25, v33
	;; [unrolled: 1-line block ×6, first 2 shown]
	s_branch .LBB4_88
.LBB4_93:
	v_sub_f32_e32 v15, s20, v10
	v_sub_f32_e32 v10, s21, v11
	v_mul_f32_e32 v5, v10, v10
	v_sub_f32_e32 v4, s22, v12
	v_fmac_f32_e32 v5, v15, v15
	v_fmac_f32_e32 v5, v4, v4
	s_mov_b32 s0, 0xf800000
	v_mul_f32_e32 v11, 0x4f800000, v5
	v_cmp_gt_f32_e32 vcc, s0, v5
	v_cndmask_b32_e32 v11, v5, v11, vcc
	v_sqrt_f32_e32 v12, v11
	v_mov_b32_e32 v5, 0
	v_mov_b32_e32 v18, 0
	v_add_u32_e32 v16, -1, v12
	v_fma_f32 v17, -v16, v12, v11
	v_cmp_ge_f32_e64 s[0:1], 0, v17
	v_add_u32_e32 v17, 1, v12
	v_cndmask_b32_e64 v16, v12, v16, s[0:1]
	v_fma_f32 v12, -v17, v12, v11
	v_cmp_lt_f32_e64 s[0:1], 0, v12
	v_cndmask_b32_e64 v12, v16, v17, s[0:1]
	v_mul_f32_e32 v16, 0x37800000, v12
	v_cndmask_b32_e32 v12, v12, v16, vcc
	v_mov_b32_e32 v16, 0x260
	v_cmp_class_f32_e32 vcc, v11, v16
	v_cndmask_b32_e32 v11, v12, v11, vcc
	v_mov_b32_e32 v12, s28
	v_add_f32_e32 v12, s23, v12
	v_cmp_lt_f32_e32 vcc, v11, v12
	v_mov_b32_e32 v17, 0
	v_mov_b32_e32 v16, 0
	s_and_saveexec_b64 s[4:5], vcc
	s_cbranch_execz .LBB4_95
; %bb.94:
	v_div_scale_f32 v16, s[0:1], v11, v11, v15
	v_div_scale_f32 v17, s[0:1], v11, v11, v10
	v_div_scale_f32 v18, vcc, v15, v11, v15
	v_div_scale_f32 v20, s[2:3], v11, v11, v4
	v_div_scale_f32 v19, s[0:1], v10, v11, v10
	;; [unrolled: 1-line block ×3, first 2 shown]
	v_rcp_f32_e32 v21, v16
	v_rcp_f32_e32 v22, v17
	v_fma_f32 v24, -v16, v21, 1.0
	v_fmac_f32_e32 v21, v24, v21
	v_mul_f32_e32 v24, v18, v21
	v_fma_f32 v26, -v16, v24, v18
	v_fma_f32 v25, -v17, v22, 1.0
	v_fmac_f32_e32 v24, v26, v21
	v_fmac_f32_e32 v22, v25, v22
	v_fma_f32 v16, -v16, v24, v18
	v_rcp_f32_e32 v18, v20
	v_mul_f32_e32 v25, v19, v22
	v_fma_f32 v27, -v17, v25, v19
	v_fmac_f32_e32 v25, v27, v22
	v_fma_f32 v17, -v17, v25, v19
	v_fma_f32 v19, -v20, v18, 1.0
	v_fmac_f32_e32 v18, v19, v18
	v_mul_f32_e32 v19, v23, v18
	v_div_fmas_f32 v16, v16, v21, v24
	s_mov_b64 vcc, s[0:1]
	v_fma_f32 v21, -v20, v19, v23
	v_div_fmas_f32 v17, v17, v22, v25
	v_fmac_f32_e32 v19, v21, v18
	v_fma_f32 v20, -v20, v19, v23
	s_mov_b64 vcc, s[2:3]
	v_div_fmas_f32 v18, v20, v18, v19
	v_sub_f32_e32 v19, 0, v0
	v_sub_f32_e32 v21, 0, v2
	;; [unrolled: 1-line block ×3, first 2 shown]
	v_div_fixup_f32 v16, v16, v11, v15
	v_div_fixup_f32 v17, v17, v11, v10
	v_mul_f32_e64 v22, -v1, v17
	v_fmac_f32_e32 v22, v19, v16
	v_div_fixup_f32 v18, v18, v11, v4
	v_sub_f32_e32 v11, v12, v11
	v_fmac_f32_e32 v22, v21, v18
	v_mul_f32_e64 v11, v11, -s27
	v_fma_f32 v23, -v16, v22, -v0
	v_fma_f32 v24, -v17, v22, -v1
	;; [unrolled: 1-line block ×3, first 2 shown]
	v_mul_f32_e32 v16, v16, v11
	v_mul_f32_e32 v17, v17, v11
	;; [unrolled: 1-line block ×3, first 2 shown]
	v_fmac_f32_e32 v16, s24, v19
	v_fmac_f32_e32 v17, s24, v20
	v_fmac_f32_e32 v18, s24, v21
	v_fmac_f32_e32 v16, s25, v23
	v_fmac_f32_e32 v17, s25, v24
	v_fmac_f32_e32 v18, s25, v22
	v_fmac_f32_e32 v16, s26, v15
	v_fmac_f32_e32 v17, s26, v10
	v_fmac_f32_e32 v18, s26, v4
.LBB4_95:
	s_or_b64 exec, exec, s[4:5]
	v_lshlrev_b64 v[10:11], 2, v[13:14]
	v_mov_b32_e32 v4, s15
	v_add_co_u32_e32 v10, vcc, s14, v10
	v_addc_co_u32_e32 v11, vcc, v4, v11, vcc
	global_load_dword v4, v[10:11], off
	v_add_f32_e32 v6, v6, v16
	v_add_f32_e32 v7, v7, v17
	;; [unrolled: 1-line block ×4, first 2 shown]
	v_mov_b32_e32 v10, s9
	v_add_f32_e32 v3, v3, v9
	v_add_f32_e32 v2, v2, v8
	;; [unrolled: 1-line block ×4, first 2 shown]
	s_waitcnt vmcnt(0)
	v_lshlrev_b64 v[4:5], 4, v[4:5]
	v_add_co_u32_e32 v4, vcc, s8, v4
	v_addc_co_u32_e32 v5, vcc, v10, v5, vcc
	global_store_dwordx4 v[4:5], v[0:3], off
.LBB4_96:
	s_endpgm
	.section	.rodata,"a",@progbits
	.p2align	6, 0x0
	.amdhsa_kernel _Z8collideKP15HIP_vector_typeIfLj4EEPKS0_S3_PKjS5_S5_11simParams_tj
		.amdhsa_group_segment_fixed_size 0
		.amdhsa_private_segment_fixed_size 0
		.amdhsa_kernarg_size 416
		.amdhsa_user_sgpr_count 6
		.amdhsa_user_sgpr_private_segment_buffer 1
		.amdhsa_user_sgpr_dispatch_ptr 0
		.amdhsa_user_sgpr_queue_ptr 0
		.amdhsa_user_sgpr_kernarg_segment_ptr 1
		.amdhsa_user_sgpr_dispatch_id 0
		.amdhsa_user_sgpr_flat_scratch_init 0
		.amdhsa_user_sgpr_private_segment_size 0
		.amdhsa_uses_dynamic_stack 0
		.amdhsa_system_sgpr_private_segment_wavefront_offset 0
		.amdhsa_system_sgpr_workgroup_id_x 1
		.amdhsa_system_sgpr_workgroup_id_y 0
		.amdhsa_system_sgpr_workgroup_id_z 0
		.amdhsa_system_sgpr_workgroup_info 0
		.amdhsa_system_vgpr_workitem_id 0
		.amdhsa_next_free_vgpr 51
		.amdhsa_next_free_sgpr 47
		.amdhsa_reserve_vcc 1
		.amdhsa_reserve_flat_scratch 0
		.amdhsa_float_round_mode_32 0
		.amdhsa_float_round_mode_16_64 0
		.amdhsa_float_denorm_mode_32 3
		.amdhsa_float_denorm_mode_16_64 3
		.amdhsa_dx10_clamp 1
		.amdhsa_ieee_mode 1
		.amdhsa_fp16_overflow 0
		.amdhsa_exception_fp_ieee_invalid_op 0
		.amdhsa_exception_fp_denorm_src 0
		.amdhsa_exception_fp_ieee_div_zero 0
		.amdhsa_exception_fp_ieee_overflow 0
		.amdhsa_exception_fp_ieee_underflow 0
		.amdhsa_exception_fp_ieee_inexact 0
		.amdhsa_exception_int_div_zero 0
	.end_amdhsa_kernel
	.text
.Lfunc_end4:
	.size	_Z8collideKP15HIP_vector_typeIfLj4EEPKS0_S3_PKjS5_S5_11simParams_tj, .Lfunc_end4-_Z8collideKP15HIP_vector_typeIfLj4EEPKS0_S3_PKjS5_S5_11simParams_tj
                                        ; -- End function
	.set _Z8collideKP15HIP_vector_typeIfLj4EEPKS0_S3_PKjS5_S5_11simParams_tj.num_vgpr, 51
	.set _Z8collideKP15HIP_vector_typeIfLj4EEPKS0_S3_PKjS5_S5_11simParams_tj.num_agpr, 0
	.set _Z8collideKP15HIP_vector_typeIfLj4EEPKS0_S3_PKjS5_S5_11simParams_tj.numbered_sgpr, 47
	.set _Z8collideKP15HIP_vector_typeIfLj4EEPKS0_S3_PKjS5_S5_11simParams_tj.num_named_barrier, 0
	.set _Z8collideKP15HIP_vector_typeIfLj4EEPKS0_S3_PKjS5_S5_11simParams_tj.private_seg_size, 0
	.set _Z8collideKP15HIP_vector_typeIfLj4EEPKS0_S3_PKjS5_S5_11simParams_tj.uses_vcc, 1
	.set _Z8collideKP15HIP_vector_typeIfLj4EEPKS0_S3_PKjS5_S5_11simParams_tj.uses_flat_scratch, 0
	.set _Z8collideKP15HIP_vector_typeIfLj4EEPKS0_S3_PKjS5_S5_11simParams_tj.has_dyn_sized_stack, 0
	.set _Z8collideKP15HIP_vector_typeIfLj4EEPKS0_S3_PKjS5_S5_11simParams_tj.has_recursion, 0
	.set _Z8collideKP15HIP_vector_typeIfLj4EEPKS0_S3_PKjS5_S5_11simParams_tj.has_indirect_call, 0
	.section	.AMDGPU.csdata,"",@progbits
; Kernel info:
; codeLenInByte = 7804
; TotalNumSgprs: 51
; NumVgprs: 51
; ScratchSize: 0
; MemoryBound: 0
; FloatMode: 240
; IeeeMode: 1
; LDSByteSize: 0 bytes/workgroup (compile time only)
; SGPRBlocks: 6
; VGPRBlocks: 12
; NumSGPRsForWavesPerEU: 51
; NumVGPRsForWavesPerEU: 51
; Occupancy: 4
; WaveLimiterHint : 1
; COMPUTE_PGM_RSRC2:SCRATCH_EN: 0
; COMPUTE_PGM_RSRC2:USER_SGPR: 6
; COMPUTE_PGM_RSRC2:TRAP_HANDLER: 0
; COMPUTE_PGM_RSRC2:TGID_X_EN: 1
; COMPUTE_PGM_RSRC2:TGID_Y_EN: 0
; COMPUTE_PGM_RSRC2:TGID_Z_EN: 0
; COMPUTE_PGM_RSRC2:TIDIG_COMP_CNT: 0
	.section	.AMDGPU.gpr_maximums,"",@progbits
	.set amdgpu.max_num_vgpr, 0
	.set amdgpu.max_num_agpr, 0
	.set amdgpu.max_num_sgpr, 0
	.section	.AMDGPU.csdata,"",@progbits
	.type	__hip_cuid_bad77feee292244b,@object ; @__hip_cuid_bad77feee292244b
	.section	.bss,"aw",@nobits
	.globl	__hip_cuid_bad77feee292244b
__hip_cuid_bad77feee292244b:
	.byte	0                               ; 0x0
	.size	__hip_cuid_bad77feee292244b, 1

	.ident	"AMD clang version 22.0.0git (https://github.com/RadeonOpenCompute/llvm-project roc-7.2.4 26084 f58b06dce1f9c15707c5f808fd002e18c2accf7e)"
	.section	".note.GNU-stack","",@progbits
	.addrsig
	.addrsig_sym __hip_cuid_bad77feee292244b
	.amdgpu_metadata
---
amdhsa.kernels:
  - .args:
      - .address_space:  global
        .offset:         0
        .size:           8
        .value_kind:     global_buffer
      - .address_space:  global
        .offset:         8
        .size:           8
        .value_kind:     global_buffer
      - .offset:         16
        .size:           104
        .value_kind:     by_value
      - .offset:         120
        .size:           4
        .value_kind:     by_value
      - .offset:         124
        .size:           4
        .value_kind:     by_value
      - .offset:         128
        .size:           4
        .value_kind:     hidden_block_count_x
      - .offset:         132
        .size:           4
        .value_kind:     hidden_block_count_y
      - .offset:         136
        .size:           4
        .value_kind:     hidden_block_count_z
      - .offset:         140
        .size:           2
        .value_kind:     hidden_group_size_x
      - .offset:         142
        .size:           2
        .value_kind:     hidden_group_size_y
      - .offset:         144
        .size:           2
        .value_kind:     hidden_group_size_z
      - .offset:         146
        .size:           2
        .value_kind:     hidden_remainder_x
      - .offset:         148
        .size:           2
        .value_kind:     hidden_remainder_y
      - .offset:         150
        .size:           2
        .value_kind:     hidden_remainder_z
      - .offset:         168
        .size:           8
        .value_kind:     hidden_global_offset_x
      - .offset:         176
        .size:           8
        .value_kind:     hidden_global_offset_y
      - .offset:         184
        .size:           8
        .value_kind:     hidden_global_offset_z
      - .offset:         192
        .size:           2
        .value_kind:     hidden_grid_dims
    .group_segment_fixed_size: 0
    .kernarg_segment_align: 8
    .kernarg_segment_size: 384
    .language:       OpenCL C
    .language_version:
      - 2
      - 0
    .max_flat_workgroup_size: 1024
    .name:           _Z16integrateSystemKP15HIP_vector_typeIfLj4EES1_11simParams_tfj
    .private_segment_fixed_size: 0
    .sgpr_count:     20
    .sgpr_spill_count: 0
    .symbol:         _Z16integrateSystemKP15HIP_vector_typeIfLj4EES1_11simParams_tfj.kd
    .uniform_work_group_size: 1
    .uses_dynamic_stack: false
    .vgpr_count:     16
    .vgpr_spill_count: 0
    .wavefront_size: 64
  - .args:
      - .actual_access:  write_only
        .address_space:  global
        .offset:         0
        .size:           8
        .value_kind:     global_buffer
      - .actual_access:  write_only
        .address_space:  global
        .offset:         8
        .size:           8
        .value_kind:     global_buffer
      - .actual_access:  read_only
        .address_space:  global
        .offset:         16
        .size:           8
        .value_kind:     global_buffer
      - .offset:         24
        .size:           104
        .value_kind:     by_value
      - .offset:         128
        .size:           4
        .value_kind:     by_value
      - .offset:         136
        .size:           4
        .value_kind:     hidden_block_count_x
      - .offset:         140
        .size:           4
        .value_kind:     hidden_block_count_y
      - .offset:         144
        .size:           4
        .value_kind:     hidden_block_count_z
      - .offset:         148
        .size:           2
        .value_kind:     hidden_group_size_x
      - .offset:         150
        .size:           2
        .value_kind:     hidden_group_size_y
      - .offset:         152
        .size:           2
        .value_kind:     hidden_group_size_z
      - .offset:         154
        .size:           2
        .value_kind:     hidden_remainder_x
      - .offset:         156
        .size:           2
        .value_kind:     hidden_remainder_y
      - .offset:         158
        .size:           2
        .value_kind:     hidden_remainder_z
      - .offset:         176
        .size:           8
        .value_kind:     hidden_global_offset_x
      - .offset:         184
        .size:           8
        .value_kind:     hidden_global_offset_y
      - .offset:         192
        .size:           8
        .value_kind:     hidden_global_offset_z
      - .offset:         200
        .size:           2
        .value_kind:     hidden_grid_dims
    .group_segment_fixed_size: 0
    .kernarg_segment_align: 8
    .kernarg_segment_size: 392
    .language:       OpenCL C
    .language_version:
      - 2
      - 0
    .max_flat_workgroup_size: 1024
    .name:           _Z9calcHashKPjS_PK15HIP_vector_typeIfLj4EE11simParams_tj
    .private_segment_fixed_size: 0
    .sgpr_count:     20
    .sgpr_spill_count: 0
    .symbol:         _Z9calcHashKPjS_PK15HIP_vector_typeIfLj4EE11simParams_tj.kd
    .uniform_work_group_size: 1
    .uses_dynamic_stack: false
    .vgpr_count:     20
    .vgpr_spill_count: 0
    .wavefront_size: 64
  - .args:
      - .address_space:  global
        .offset:         0
        .size:           8
        .value_kind:     global_buffer
      - .offset:         8
        .size:           4
        .value_kind:     by_value
      - .offset:         12
        .size:           4
        .value_kind:     by_value
      - .offset:         16
        .size:           4
        .value_kind:     hidden_block_count_x
      - .offset:         20
        .size:           4
        .value_kind:     hidden_block_count_y
      - .offset:         24
        .size:           4
        .value_kind:     hidden_block_count_z
      - .offset:         28
        .size:           2
        .value_kind:     hidden_group_size_x
      - .offset:         30
        .size:           2
        .value_kind:     hidden_group_size_y
      - .offset:         32
        .size:           2
        .value_kind:     hidden_group_size_z
      - .offset:         34
        .size:           2
        .value_kind:     hidden_remainder_x
      - .offset:         36
        .size:           2
        .value_kind:     hidden_remainder_y
      - .offset:         38
        .size:           2
        .value_kind:     hidden_remainder_z
      - .offset:         56
        .size:           8
        .value_kind:     hidden_global_offset_x
      - .offset:         64
        .size:           8
        .value_kind:     hidden_global_offset_y
      - .offset:         72
        .size:           8
        .value_kind:     hidden_global_offset_z
      - .offset:         80
        .size:           2
        .value_kind:     hidden_grid_dims
    .group_segment_fixed_size: 0
    .kernarg_segment_align: 8
    .kernarg_segment_size: 272
    .language:       OpenCL C
    .language_version:
      - 2
      - 0
    .max_flat_workgroup_size: 1024
    .name:           _Z7memSetKPjjj
    .private_segment_fixed_size: 0
    .sgpr_count:     11
    .sgpr_spill_count: 0
    .symbol:         _Z7memSetKPjjj.kd
    .uniform_work_group_size: 1
    .uses_dynamic_stack: false
    .vgpr_count:     3
    .vgpr_spill_count: 0
    .wavefront_size: 64
  - .args:
      - .actual_access:  write_only
        .address_space:  global
        .offset:         0
        .size:           8
        .value_kind:     global_buffer
      - .actual_access:  write_only
        .address_space:  global
        .offset:         8
        .size:           8
        .value_kind:     global_buffer
      - .actual_access:  write_only
        .address_space:  global
        .offset:         16
        .size:           8
        .value_kind:     global_buffer
      - .actual_access:  write_only
        .address_space:  global
        .offset:         24
        .size:           8
        .value_kind:     global_buffer
      - .actual_access:  read_only
        .address_space:  global
        .offset:         32
        .size:           8
        .value_kind:     global_buffer
      - .actual_access:  read_only
        .address_space:  global
        .offset:         40
        .size:           8
        .value_kind:     global_buffer
      - .actual_access:  read_only
        .address_space:  global
        .offset:         48
        .size:           8
        .value_kind:     global_buffer
      - .actual_access:  read_only
        .address_space:  global
        .offset:         56
        .size:           8
        .value_kind:     global_buffer
      - .offset:         64
        .size:           4
        .value_kind:     by_value
      - .offset:         72
        .size:           4
        .value_kind:     hidden_block_count_x
      - .offset:         76
        .size:           4
        .value_kind:     hidden_block_count_y
      - .offset:         80
        .size:           4
        .value_kind:     hidden_block_count_z
      - .offset:         84
        .size:           2
        .value_kind:     hidden_group_size_x
      - .offset:         86
        .size:           2
        .value_kind:     hidden_group_size_y
      - .offset:         88
        .size:           2
        .value_kind:     hidden_group_size_z
      - .offset:         90
        .size:           2
        .value_kind:     hidden_remainder_x
      - .offset:         92
        .size:           2
        .value_kind:     hidden_remainder_y
      - .offset:         94
        .size:           2
        .value_kind:     hidden_remainder_z
      - .offset:         112
        .size:           8
        .value_kind:     hidden_global_offset_x
      - .offset:         120
        .size:           8
        .value_kind:     hidden_global_offset_y
      - .offset:         128
        .size:           8
        .value_kind:     hidden_global_offset_z
      - .offset:         136
        .size:           2
        .value_kind:     hidden_grid_dims
      - .offset:         192
        .size:           4
        .value_kind:     hidden_dynamic_lds_size
    .group_segment_fixed_size: 0
    .kernarg_segment_align: 8
    .kernarg_segment_size: 328
    .language:       OpenCL C
    .language_version:
      - 2
      - 0
    .max_flat_workgroup_size: 1024
    .name:           _Z25findCellBoundsAndReorderKPjS_P15HIP_vector_typeIfLj4EES2_PKjS4_PKS1_S6_j
    .private_segment_fixed_size: 0
    .sgpr_count:     23
    .sgpr_spill_count: 0
    .symbol:         _Z25findCellBoundsAndReorderKPjS_P15HIP_vector_typeIfLj4EES2_PKjS4_PKS1_S6_j.kd
    .uniform_work_group_size: 1
    .uses_dynamic_stack: false
    .vgpr_count:     15
    .vgpr_spill_count: 0
    .wavefront_size: 64
  - .args:
      - .actual_access:  write_only
        .address_space:  global
        .offset:         0
        .size:           8
        .value_kind:     global_buffer
      - .actual_access:  read_only
        .address_space:  global
        .offset:         8
        .size:           8
        .value_kind:     global_buffer
      - .actual_access:  read_only
        .address_space:  global
        .offset:         16
        .size:           8
        .value_kind:     global_buffer
      - .actual_access:  read_only
        .address_space:  global
        .offset:         24
        .size:           8
        .value_kind:     global_buffer
      - .actual_access:  read_only
        .address_space:  global
        .offset:         32
        .size:           8
        .value_kind:     global_buffer
      - .actual_access:  read_only
        .address_space:  global
        .offset:         40
        .size:           8
        .value_kind:     global_buffer
      - .offset:         48
        .size:           104
        .value_kind:     by_value
      - .offset:         152
        .size:           4
        .value_kind:     by_value
      - .offset:         160
        .size:           4
        .value_kind:     hidden_block_count_x
      - .offset:         164
        .size:           4
        .value_kind:     hidden_block_count_y
      - .offset:         168
        .size:           4
        .value_kind:     hidden_block_count_z
      - .offset:         172
        .size:           2
        .value_kind:     hidden_group_size_x
      - .offset:         174
        .size:           2
        .value_kind:     hidden_group_size_y
      - .offset:         176
        .size:           2
        .value_kind:     hidden_group_size_z
      - .offset:         178
        .size:           2
        .value_kind:     hidden_remainder_x
      - .offset:         180
        .size:           2
        .value_kind:     hidden_remainder_y
      - .offset:         182
        .size:           2
        .value_kind:     hidden_remainder_z
      - .offset:         200
        .size:           8
        .value_kind:     hidden_global_offset_x
      - .offset:         208
        .size:           8
        .value_kind:     hidden_global_offset_y
      - .offset:         216
        .size:           8
        .value_kind:     hidden_global_offset_z
      - .offset:         224
        .size:           2
        .value_kind:     hidden_grid_dims
    .group_segment_fixed_size: 0
    .kernarg_segment_align: 8
    .kernarg_segment_size: 416
    .language:       OpenCL C
    .language_version:
      - 2
      - 0
    .max_flat_workgroup_size: 1024
    .name:           _Z8collideKP15HIP_vector_typeIfLj4EEPKS0_S3_PKjS5_S5_11simParams_tj
    .private_segment_fixed_size: 0
    .sgpr_count:     51
    .sgpr_spill_count: 0
    .symbol:         _Z8collideKP15HIP_vector_typeIfLj4EEPKS0_S3_PKjS5_S5_11simParams_tj.kd
    .uniform_work_group_size: 1
    .uses_dynamic_stack: false
    .vgpr_count:     51
    .vgpr_spill_count: 0
    .wavefront_size: 64
amdhsa.target:   amdgcn-amd-amdhsa--gfx906
amdhsa.version:
  - 1
  - 2
...

	.end_amdgpu_metadata
